;; amdgpu-corpus repo=ROCm/flash-attention kind=compiled arch=gfx90a opt=O3
	.text
	.amdgcn_target "amdgcn-amd-amdhsa--gfx90a"
	.amdhsa_code_object_version 6
	.section	.text._ZN7ck_tileL11flush_cacheEv,"axG",@progbits,_ZN7ck_tileL11flush_cacheEv,comdat
	.globl	_ZN7ck_tileL11flush_cacheEv     ; -- Begin function _ZN7ck_tileL11flush_cacheEv
	.p2align	8
	.type	_ZN7ck_tileL11flush_cacheEv,@function
_ZN7ck_tileL11flush_cacheEv:            ; @_ZN7ck_tileL11flush_cacheEv
; %bb.0:
	;;#ASMSTART
	s_icache_inv 
	s_nop 0 
	s_nop 0 
	;; [unrolled: 1-line block ×16, first 2 shown]
	
	;;#ASMEND
	s_endpgm
	.section	.rodata,"a",@progbits
	.p2align	6, 0x0
	.amdhsa_kernel _ZN7ck_tileL11flush_cacheEv
		.amdhsa_group_segment_fixed_size 0
		.amdhsa_private_segment_fixed_size 0
		.amdhsa_kernarg_size 0
		.amdhsa_user_sgpr_count 4
		.amdhsa_user_sgpr_private_segment_buffer 1
		.amdhsa_user_sgpr_dispatch_ptr 0
		.amdhsa_user_sgpr_queue_ptr 0
		.amdhsa_user_sgpr_kernarg_segment_ptr 0
		.amdhsa_user_sgpr_dispatch_id 0
		.amdhsa_user_sgpr_flat_scratch_init 0
		.amdhsa_user_sgpr_kernarg_preload_length 0
		.amdhsa_user_sgpr_kernarg_preload_offset 0
		.amdhsa_user_sgpr_private_segment_size 0
		.amdhsa_uses_dynamic_stack 0
		.amdhsa_system_sgpr_private_segment_wavefront_offset 0
		.amdhsa_system_sgpr_workgroup_id_x 1
		.amdhsa_system_sgpr_workgroup_id_y 0
		.amdhsa_system_sgpr_workgroup_id_z 0
		.amdhsa_system_sgpr_workgroup_info 0
		.amdhsa_system_vgpr_workitem_id 0
		.amdhsa_next_free_vgpr 1
		.amdhsa_next_free_sgpr 0
		.amdhsa_accum_offset 4
		.amdhsa_reserve_vcc 0
		.amdhsa_reserve_flat_scratch 0
		.amdhsa_float_round_mode_32 0
		.amdhsa_float_round_mode_16_64 0
		.amdhsa_float_denorm_mode_32 0
		.amdhsa_float_denorm_mode_16_64 3
		.amdhsa_dx10_clamp 1
		.amdhsa_ieee_mode 1
		.amdhsa_fp16_overflow 0
		.amdhsa_tg_split 0
		.amdhsa_exception_fp_ieee_invalid_op 0
		.amdhsa_exception_fp_denorm_src 0
		.amdhsa_exception_fp_ieee_div_zero 0
		.amdhsa_exception_fp_ieee_overflow 0
		.amdhsa_exception_fp_ieee_underflow 0
		.amdhsa_exception_fp_ieee_inexact 0
		.amdhsa_exception_int_div_zero 0
	.end_amdhsa_kernel
	.section	.text._ZN7ck_tileL11flush_cacheEv,"axG",@progbits,_ZN7ck_tileL11flush_cacheEv,comdat
.Lfunc_end0:
	.size	_ZN7ck_tileL11flush_cacheEv, .Lfunc_end0-_ZN7ck_tileL11flush_cacheEv
                                        ; -- End function
	.section	.AMDGPU.csdata,"",@progbits
; Kernel info:
; codeLenInByte = 140
; NumSgprs: 4
; NumVgprs: 0
; NumAgprs: 0
; TotalNumVgprs: 0
; ScratchSize: 0
; MemoryBound: 0
; FloatMode: 192
; IeeeMode: 1
; LDSByteSize: 0 bytes/workgroup (compile time only)
; SGPRBlocks: 0
; VGPRBlocks: 0
; NumSGPRsForWavesPerEU: 4
; NumVGPRsForWavesPerEU: 1
; AccumOffset: 4
; Occupancy: 8
; WaveLimiterHint : 0
; COMPUTE_PGM_RSRC2:SCRATCH_EN: 0
; COMPUTE_PGM_RSRC2:USER_SGPR: 4
; COMPUTE_PGM_RSRC2:TRAP_HANDLER: 0
; COMPUTE_PGM_RSRC2:TGID_X_EN: 1
; COMPUTE_PGM_RSRC2:TGID_Y_EN: 0
; COMPUTE_PGM_RSRC2:TGID_Z_EN: 0
; COMPUTE_PGM_RSRC2:TIDIG_COMP_CNT: 0
; COMPUTE_PGM_RSRC3_GFX90A:ACCUM_OFFSET: 0
; COMPUTE_PGM_RSRC3_GFX90A:TG_SPLIT: 0
	.section	.text._ZN7ck_tile6kentryINS_6gfx9_tELi1ENS_19FmhaBwdDQDKDVKernelINS_26BlockFmhaBwdDQDKDVPipelineINS_27BlockFmhaBwdPipelineProblemIDF16_DF16_DF16_DF16_fffDF16_hDF16_DF16_DF16_DF16_DF16_DF16_NS_16TileFmhaBwdShapeINS_8sequenceIJLi16ELi64ELi256ELi16ELi256ELi16ELi32ELi256ELi256EEEENS6_IJLi1ELi4ELi1EEEENS6_IJLi16ELi16ELi32EEEENS6_IJLi4ELi1ELi1EEEENS6_IJLi16ELi16ELi16EEEES8_S9_SA_SB_S8_S9_Li0EEELb0ELb1ENS_30SimplifiedGenericAttentionMaskILb1EEENS_15BlockDropoutBwdILb1ELb0ELb0EEELb0ENS_17TileFmhaBwdTraitsILi0ELi0ELNS_22BlockAttentionBiasEnumE2ELb0ELi1EEEEEvEENS_17Default2DEpilogueINS_24Default2DEpilogueProblemIfDF16_Lb0ELb0ELb1EEEvEESP_SP_EEJNSQ_21FmhaBwdBatchModeKargsEEEENSt9enable_ifIXnt26kattr_no_packed_fp32_ops_vIT_EEvE4typeEDpT2_,"axG",@progbits,_ZN7ck_tile6kentryINS_6gfx9_tELi1ENS_19FmhaBwdDQDKDVKernelINS_26BlockFmhaBwdDQDKDVPipelineINS_27BlockFmhaBwdPipelineProblemIDF16_DF16_DF16_DF16_fffDF16_hDF16_DF16_DF16_DF16_DF16_DF16_NS_16TileFmhaBwdShapeINS_8sequenceIJLi16ELi64ELi256ELi16ELi256ELi16ELi32ELi256ELi256EEEENS6_IJLi1ELi4ELi1EEEENS6_IJLi16ELi16ELi32EEEENS6_IJLi4ELi1ELi1EEEENS6_IJLi16ELi16ELi16EEEES8_S9_SA_SB_S8_S9_Li0EEELb0ELb1ENS_30SimplifiedGenericAttentionMaskILb1EEENS_15BlockDropoutBwdILb1ELb0ELb0EEELb0ENS_17TileFmhaBwdTraitsILi0ELi0ELNS_22BlockAttentionBiasEnumE2ELb0ELi1EEEEEvEENS_17Default2DEpilogueINS_24Default2DEpilogueProblemIfDF16_Lb0ELb0ELb1EEEvEESP_SP_EEJNSQ_21FmhaBwdBatchModeKargsEEEENSt9enable_ifIXnt26kattr_no_packed_fp32_ops_vIT_EEvE4typeEDpT2_,comdat
	.protected	_ZN7ck_tile6kentryINS_6gfx9_tELi1ENS_19FmhaBwdDQDKDVKernelINS_26BlockFmhaBwdDQDKDVPipelineINS_27BlockFmhaBwdPipelineProblemIDF16_DF16_DF16_DF16_fffDF16_hDF16_DF16_DF16_DF16_DF16_DF16_NS_16TileFmhaBwdShapeINS_8sequenceIJLi16ELi64ELi256ELi16ELi256ELi16ELi32ELi256ELi256EEEENS6_IJLi1ELi4ELi1EEEENS6_IJLi16ELi16ELi32EEEENS6_IJLi4ELi1ELi1EEEENS6_IJLi16ELi16ELi16EEEES8_S9_SA_SB_S8_S9_Li0EEELb0ELb1ENS_30SimplifiedGenericAttentionMaskILb1EEENS_15BlockDropoutBwdILb1ELb0ELb0EEELb0ENS_17TileFmhaBwdTraitsILi0ELi0ELNS_22BlockAttentionBiasEnumE2ELb0ELi1EEEEEvEENS_17Default2DEpilogueINS_24Default2DEpilogueProblemIfDF16_Lb0ELb0ELb1EEEvEESP_SP_EEJNSQ_21FmhaBwdBatchModeKargsEEEENSt9enable_ifIXnt26kattr_no_packed_fp32_ops_vIT_EEvE4typeEDpT2_ ; -- Begin function _ZN7ck_tile6kentryINS_6gfx9_tELi1ENS_19FmhaBwdDQDKDVKernelINS_26BlockFmhaBwdDQDKDVPipelineINS_27BlockFmhaBwdPipelineProblemIDF16_DF16_DF16_DF16_fffDF16_hDF16_DF16_DF16_DF16_DF16_DF16_NS_16TileFmhaBwdShapeINS_8sequenceIJLi16ELi64ELi256ELi16ELi256ELi16ELi32ELi256ELi256EEEENS6_IJLi1ELi4ELi1EEEENS6_IJLi16ELi16ELi32EEEENS6_IJLi4ELi1ELi1EEEENS6_IJLi16ELi16ELi16EEEES8_S9_SA_SB_S8_S9_Li0EEELb0ELb1ENS_30SimplifiedGenericAttentionMaskILb1EEENS_15BlockDropoutBwdILb1ELb0ELb0EEELb0ENS_17TileFmhaBwdTraitsILi0ELi0ELNS_22BlockAttentionBiasEnumE2ELb0ELi1EEEEEvEENS_17Default2DEpilogueINS_24Default2DEpilogueProblemIfDF16_Lb0ELb0ELb1EEEvEESP_SP_EEJNSQ_21FmhaBwdBatchModeKargsEEEENSt9enable_ifIXnt26kattr_no_packed_fp32_ops_vIT_EEvE4typeEDpT2_
	.globl	_ZN7ck_tile6kentryINS_6gfx9_tELi1ENS_19FmhaBwdDQDKDVKernelINS_26BlockFmhaBwdDQDKDVPipelineINS_27BlockFmhaBwdPipelineProblemIDF16_DF16_DF16_DF16_fffDF16_hDF16_DF16_DF16_DF16_DF16_DF16_NS_16TileFmhaBwdShapeINS_8sequenceIJLi16ELi64ELi256ELi16ELi256ELi16ELi32ELi256ELi256EEEENS6_IJLi1ELi4ELi1EEEENS6_IJLi16ELi16ELi32EEEENS6_IJLi4ELi1ELi1EEEENS6_IJLi16ELi16ELi16EEEES8_S9_SA_SB_S8_S9_Li0EEELb0ELb1ENS_30SimplifiedGenericAttentionMaskILb1EEENS_15BlockDropoutBwdILb1ELb0ELb0EEELb0ENS_17TileFmhaBwdTraitsILi0ELi0ELNS_22BlockAttentionBiasEnumE2ELb0ELi1EEEEEvEENS_17Default2DEpilogueINS_24Default2DEpilogueProblemIfDF16_Lb0ELb0ELb1EEEvEESP_SP_EEJNSQ_21FmhaBwdBatchModeKargsEEEENSt9enable_ifIXnt26kattr_no_packed_fp32_ops_vIT_EEvE4typeEDpT2_
	.p2align	8
	.type	_ZN7ck_tile6kentryINS_6gfx9_tELi1ENS_19FmhaBwdDQDKDVKernelINS_26BlockFmhaBwdDQDKDVPipelineINS_27BlockFmhaBwdPipelineProblemIDF16_DF16_DF16_DF16_fffDF16_hDF16_DF16_DF16_DF16_DF16_DF16_NS_16TileFmhaBwdShapeINS_8sequenceIJLi16ELi64ELi256ELi16ELi256ELi16ELi32ELi256ELi256EEEENS6_IJLi1ELi4ELi1EEEENS6_IJLi16ELi16ELi32EEEENS6_IJLi4ELi1ELi1EEEENS6_IJLi16ELi16ELi16EEEES8_S9_SA_SB_S8_S9_Li0EEELb0ELb1ENS_30SimplifiedGenericAttentionMaskILb1EEENS_15BlockDropoutBwdILb1ELb0ELb0EEELb0ENS_17TileFmhaBwdTraitsILi0ELi0ELNS_22BlockAttentionBiasEnumE2ELb0ELi1EEEEEvEENS_17Default2DEpilogueINS_24Default2DEpilogueProblemIfDF16_Lb0ELb0ELb1EEEvEESP_SP_EEJNSQ_21FmhaBwdBatchModeKargsEEEENSt9enable_ifIXnt26kattr_no_packed_fp32_ops_vIT_EEvE4typeEDpT2_,@function
_ZN7ck_tile6kentryINS_6gfx9_tELi1ENS_19FmhaBwdDQDKDVKernelINS_26BlockFmhaBwdDQDKDVPipelineINS_27BlockFmhaBwdPipelineProblemIDF16_DF16_DF16_DF16_fffDF16_hDF16_DF16_DF16_DF16_DF16_DF16_NS_16TileFmhaBwdShapeINS_8sequenceIJLi16ELi64ELi256ELi16ELi256ELi16ELi32ELi256ELi256EEEENS6_IJLi1ELi4ELi1EEEENS6_IJLi16ELi16ELi32EEEENS6_IJLi4ELi1ELi1EEEENS6_IJLi16ELi16ELi16EEEES8_S9_SA_SB_S8_S9_Li0EEELb0ELb1ENS_30SimplifiedGenericAttentionMaskILb1EEENS_15BlockDropoutBwdILb1ELb0ELb0EEELb0ENS_17TileFmhaBwdTraitsILi0ELi0ELNS_22BlockAttentionBiasEnumE2ELb0ELi1EEEEEvEENS_17Default2DEpilogueINS_24Default2DEpilogueProblemIfDF16_Lb0ELb0ELb1EEEvEESP_SP_EEJNSQ_21FmhaBwdBatchModeKargsEEEENSt9enable_ifIXnt26kattr_no_packed_fp32_ops_vIT_EEvE4typeEDpT2_: ; @_ZN7ck_tile6kentryINS_6gfx9_tELi1ENS_19FmhaBwdDQDKDVKernelINS_26BlockFmhaBwdDQDKDVPipelineINS_27BlockFmhaBwdPipelineProblemIDF16_DF16_DF16_DF16_fffDF16_hDF16_DF16_DF16_DF16_DF16_DF16_NS_16TileFmhaBwdShapeINS_8sequenceIJLi16ELi64ELi256ELi16ELi256ELi16ELi32ELi256ELi256EEEENS6_IJLi1ELi4ELi1EEEENS6_IJLi16ELi16ELi32EEEENS6_IJLi4ELi1ELi1EEEENS6_IJLi16ELi16ELi16EEEES8_S9_SA_SB_S8_S9_Li0EEELb0ELb1ENS_30SimplifiedGenericAttentionMaskILb1EEENS_15BlockDropoutBwdILb1ELb0ELb0EEELb0ENS_17TileFmhaBwdTraitsILi0ELi0ELNS_22BlockAttentionBiasEnumE2ELb0ELi1EEEEEvEENS_17Default2DEpilogueINS_24Default2DEpilogueProblemIfDF16_Lb0ELb0ELb1EEEvEESP_SP_EEJNSQ_21FmhaBwdBatchModeKargsEEEENSt9enable_ifIXnt26kattr_no_packed_fp32_ops_vIT_EEvE4typeEDpT2_
; %bb.0:
	s_mov_b64 s[98:99], s[2:3]
	s_mov_b64 s[96:97], s[0:1]
	s_add_u32 s96, s96, s7
	s_load_dword s0, s[4:5], 0x140
	s_load_dwordx2 s[34:35], s[4:5], 0x48
	s_load_dwordx2 s[44:45], s[4:5], 0x58
	s_load_dword s2, s[4:5], 0x108
	s_load_dword s3, s[4:5], 0x130
	s_addc_u32 s97, s97, 0
	s_waitcnt lgkmcnt(0)
	s_lshr_b32 s0, s0, 16
	s_cmp_lg_u32 s0, 0
	s_cselect_b64 s[0:1], -1, 0
	s_cmp_lg_u64 s[0:1], 0
	s_addc_u32 s7, s3, 0
	s_add_i32 s8, s35, 63
	s_ashr_i32 s9, s8, 31
	s_lshr_b32 s9, s9, 26
	s_add_i32 s8, s8, s9
	s_ashr_i32 s47, s8, 6
	s_mul_i32 s11, s47, s44
	s_mul_i32 s11, s11, s2
	s_cmp_lg_u64 s[0:1], 0
	s_addc_u32 s0, s11, s3
	s_abs_i32 s1, s7
	v_cvt_f32_u32_e32 v1, s1
	s_add_i32 s0, s0, -1
	s_xor_b32 s2, s0, s7
	s_sub_i32 s3, 0, s1
	v_rcp_iflag_f32_e32 v1, v1
	s_abs_i32 s0, s0
	s_ashr_i32 s2, s2, 31
	v_mul_f32_e32 v1, 0x4f7ffffe, v1
	v_cvt_u32_f32_e32 v1, v1
	v_readfirstlane_b32 s7, v1
	s_mul_i32 s3, s3, s7
	s_mul_hi_u32 s3, s7, s3
	s_add_i32 s7, s7, s3
	s_mul_hi_u32 s3, s0, s7
	s_mul_i32 s7, s3, s1
	s_sub_i32 s0, s0, s7
	s_add_i32 s7, s3, 1
	s_sub_i32 s8, s0, s1
	s_cmp_ge_u32 s0, s1
	s_cselect_b32 s3, s7, s3
	s_cselect_b32 s0, s8, s0
	s_add_i32 s7, s3, 1
	s_cmp_ge_u32 s0, s1
	s_cselect_b32 s0, s7, s3
	s_xor_b32 s0, s0, s2
	s_sub_i32 s10, s0, s2
	s_mul_i32 s92, s10, s6
	s_cmp_ge_i32 s92, s11
	s_cbranch_scc1 .LBB1_25
; %bb.1:
	s_load_dwordx16 s[12:27], s[4:5], 0x0
                                        ; implicit-def: $vgpr254 : SGPR spill to VGPR lane
	s_load_dwordx8 s[48:55], s[4:5], 0xb8
	s_sub_i32 s9, s34, s35
	s_add_i32 s6, s35, -1
	s_sub_i32 s8, s35, s34
	s_waitcnt lgkmcnt(0)
	v_writelane_b32 v254, s12, 0
	v_writelane_b32 v254, s13, 1
	;; [unrolled: 1-line block ×16, first 2 shown]
	s_load_dwordx2 s[72:73], s[4:5], 0x40
	s_load_dwordx8 s[36:43], s[4:5], 0x64
	s_load_dwordx4 s[60:63], s[4:5], 0x98
	s_load_dwordx2 s[12:13], s[4:5], 0xa8
	s_add_i32 s1, s34, -1
	s_add_i32 s0, s9, 1
	s_cmp_eq_u32 s50, 1
	s_cselect_b32 s7, 1, s0
	s_cselect_b32 s0, s1, s6
	s_add_i32 s2, s8, 1
	s_cmp_eq_u32 s50, 1
	s_waitcnt lgkmcnt(0)
	v_writelane_b32 v254, s12, 16
	v_writelane_b32 v254, s13, 17
	s_cselect_b32 s16, s6, s1
	s_cselect_b32 s17, 1, s2
	s_abs_i32 s13, s47
	v_cvt_f32_u32_e32 v1, s13
	s_load_dword s51, s[4:5], 0xb0
	s_load_dwordx2 s[94:95], s[4:5], 0xe0
	s_load_dword s93, s[4:5], 0xe8
	s_load_dwordx4 s[64:67], s[4:5], 0x120
	s_load_dword s91, s[4:5], 0x11c
	s_load_dwordx4 s[20:23], s[4:5], 0x10c
	s_load_dword s3, s[4:5], 0x104
	v_lshrrev_b32_e32 v241, 6, v0
	v_mbcnt_lo_u32_b32 v0, -1, 0
	v_rcp_iflag_f32_e32 v1, v1
	v_mbcnt_hi_u32_b32 v0, -1, v0
	s_waitcnt lgkmcnt(0)
	v_writelane_b32 v254, s3, 18
	s_load_dword s18, s[4:5], 0xd8
	s_load_dwordx2 s[2:3], s[4:5], 0x50
	s_load_dwordx4 s[24:27], s[4:5], 0x84
	s_nop 0
	s_load_dword s4, s[4:5], 0x94
	v_mul_f32_e32 v1, 0x4f7ffffe, v1
	v_cvt_u32_f32_e32 v1, v1
	s_abs_i32 s5, s92
	v_lshrrev_b32_e32 v10, 5, v0
	s_waitcnt lgkmcnt(0)
	v_writelane_b32 v254, s4, 19
	s_add_i32 s4, s92, s10
	s_min_i32 s4, s4, s11
	s_sub_i32 s11, 0, s13
	v_readfirstlane_b32 s12, v1
	s_mul_i32 s11, s11, s12
	s_mul_hi_u32 s11, s12, s11
	v_writelane_b32 v254, s4, 20
	s_add_i32 s11, s12, s11
	v_writelane_b32 v254, s11, 21
	s_mul_hi_u32 s11, s5, s11
	s_mul_i32 s11, s11, s13
	s_sub_i32 s5, s5, s11
	s_ashr_i32 s4, s92, 31
	s_sub_i32 s11, s5, s13
	s_cmp_ge_u32 s5, s13
	s_cselect_b32 s5, s11, s5
	s_sub_i32 s11, s5, s13
	s_cmp_ge_u32 s5, s13
	s_cselect_b32 s5, s11, s5
	s_xor_b32 s5, s5, s4
	s_sub_i32 s4, s5, s4
	s_add_i32 s4, s10, s4
	s_add_i32 s4, s4, -1
	s_xor_b32 s5, s4, s10
	s_abs_i32 s10, s10
	v_cvt_f32_u32_e32 v1, s10
	v_lshlrev_b32_e32 v3, 3, v10
	v_and_b32_e32 v11, 7, v0
	v_bfe_u32 v4, v0, 4, 1
	v_rcp_iflag_f32_e32 v1, v1
	buffer_store_dword v3, off, s[96:99], 0 ; 4-byte Folded Spill
	v_or_b32_e32 v8, v3, v11
	v_lshlrev_b32_e32 v3, 13, v4
	v_mul_f32_e32 v1, 0x4f7ffffe, v1
	v_cvt_u32_f32_e32 v1, v1
	v_lshl_or_b32 v3, v8, 8, v3
	v_lshrrev_b32_e32 v224, 4, v0
	buffer_store_dword v3, off, s[96:99], 0 offset:4 ; 4-byte Folded Spill
	v_readfirstlane_b32 s12, v1
	v_lshlrev_b32_e32 v1, 3, v0
	v_and_b32_e32 v2, 0xf8, v1
	v_lshrrev_b32_e32 v3, 2, v0
	v_accvgpr_write_b32 a208, v2
	v_lshlrev_b32_e32 v2, 3, v224
	v_accvgpr_write_b32 a211, v4
	v_and_b32_e32 v4, 24, v3
	buffer_store_dword v4, off, s[96:99], 0 offset:8 ; 4-byte Folded Spill
	v_add_u32_e32 v4, 32, v2
	v_lshrrev_b32_e32 v5, 3, v4
	buffer_store_dword v5, off, s[96:99], 0 offset:12 ; 4-byte Folded Spill
	v_or_b32_e32 v5, 8, v224
	buffer_store_dword v5, off, s[96:99], 0 offset:16 ; 4-byte Folded Spill
	v_add_u32_e32 v5, 0x60, v2
	v_lshrrev_b32_e32 v5, 3, v5
	buffer_store_dword v5, off, s[96:99], 0 offset:20 ; 4-byte Folded Spill
	v_or_b32_e32 v5, 16, v224
	buffer_store_dword v5, off, s[96:99], 0 offset:24 ; 4-byte Folded Spill
	v_add_u32_e32 v5, 0xa0, v2
	v_lshrrev_b32_e32 v5, 3, v5
	v_accvgpr_write_b32 a219, v5
	v_or_b32_e32 v5, 24, v224
	v_accvgpr_write_b32 a220, v5
	v_add_u32_e32 v5, 0xe0, v2
	v_lshrrev_b32_e32 v6, 8, v5
	v_bfe_u32 v5, v5, 3, 5
	v_accvgpr_write_b32 a221, v5
	v_lshlrev_b32_e32 v5, 15, v6
	v_accvgpr_write_b32 a222, v5
	v_lshrrev_b32_e32 v5, 4, v4
	v_sub_u32_e32 v7, v5, v10
	v_accvgpr_write_b32 a212, v8
	v_lshl_add_u32 v8, v7, 3, v8
	v_ashrrev_i32_e32 v9, 31, v8
	v_lshrrev_b32_e32 v9, 27, v9
	v_add_u32_e32 v9, v8, v9
	v_and_b32_e32 v9, 0xffffffe0, v9
	v_sub_u32_e32 v9, v8, v9
	v_sub_u32_e32 v5, v10, v5
	v_accvgpr_write_b32 a223, v9
	v_lshlrev_b32_e32 v9, 11, v7
	v_lshl_add_u32 v8, v5, 3, v8
	v_accvgpr_write_b32 a224, v9
	v_ashrrev_i32_e32 v9, 31, v8
	v_lshrrev_b32_e32 v9, 27, v9
	v_add_u32_e32 v9, v8, v9
	v_lshlrev_b32_e32 v5, 11, v5
	v_and_b32_e32 v9, 0xffffffe0, v9
	v_accvgpr_write_b32 a226, v5
	v_lshlrev_b32_e32 v5, 12, v7
	v_or_b32_e32 v2, v2, v11
	v_lshrrev_b16_e32 v7, 2, v0
	v_sub_u32_e32 v8, v8, v9
	v_accvgpr_write_b32 a227, v5
	v_and_b32_e32 v5, 15, v2
	v_and_b32_e32 v7, 2, v7
	v_accvgpr_write_b32 a225, v8
	v_lshlrev_b32_e32 v2, 6, v2
	v_and_b32_e32 v7, 0xffff, v7
	v_lshlrev_b32_e32 v8, 2, v5
	v_bfe_u32 v126, v1, 4, 4
	v_lshlrev_b32_e32 v1, 1, v0
	v_or3_b32 v2, v2, v7, v8
	v_and_b32_e32 v1, 2, v1
	v_accvgpr_write_b32 a230, v1
	v_lshlrev_b32_e32 v1, 12, v6
	v_lshlrev_b32_e32 v128, 1, v2
	v_accvgpr_write_b32 a231, v1
	v_add_u32_e32 v1, 0x4000, v128
	v_accvgpr_write_b32 a232, v1
	v_xor_b32_e32 v1, 1, v5
	v_sub_u32_e32 v6, v1, v5
	v_lshl_add_u32 v2, v6, 2, v2
	v_lshlrev_b32_e32 v130, 1, v2
	v_add_u32_e32 v6, 0x4000, v130
	v_accvgpr_write_b32 a233, v6
	v_xor_b32_e32 v6, 2, v5
	v_sub_u32_e32 v6, v6, v1
	v_lshlrev_b32_e32 v6, 2, v6
	v_add_lshl_u32 v129, v2, v6, 1
	v_add_u32_e32 v6, 0x4000, v129
	v_accvgpr_write_b32 a234, v6
	v_xor_b32_e32 v6, 3, v5
	v_sub_u32_e32 v6, v6, v1
	v_lshlrev_b32_e32 v6, 2, v6
	v_add_lshl_u32 v131, v2, v6, 1
	s_sub_i32 s11, 0, s10
	v_add_u32_e32 v6, 0x4000, v131
	s_mul_i32 s11, s11, s12
	v_accvgpr_write_b32 a235, v6
	v_xor_b32_e32 v6, 4, v5
	s_mul_hi_u32 s11, s12, s11
	v_sub_u32_e32 v6, v6, v1
	s_abs_i32 s4, s4
	s_add_i32 s12, s12, s11
	v_lshlrev_b32_e32 v6, 2, v6
	s_mul_hi_u32 s11, s4, s12
	v_add_lshl_u32 v132, v6, v2, 1
	s_mul_i32 s12, s11, s10
	v_add_u32_e32 v6, 0x4000, v132
	s_sub_i32 s4, s4, s12
	v_accvgpr_write_b32 a236, v6
	v_xor_b32_e32 v6, 5, v5
	v_writelane_b32 v254, s13, 22
	s_ashr_i32 s5, s5, 31
	s_add_i32 s12, s11, 1
	s_sub_i32 s13, s4, s10
	v_sub_u32_e32 v6, v6, v1
	s_cmp_ge_u32 s4, s10
	v_lshlrev_b32_e32 v6, 2, v6
	s_cselect_b32 s11, s12, s11
	v_add_lshl_u32 v134, v6, v2, 1
	s_cselect_b32 s4, s13, s4
	s_add_i32 s12, s11, 1
	v_add_u32_e32 v6, 0x4000, v134
	s_cmp_ge_u32 s4, s10
	v_accvgpr_write_b32 a237, v6
	v_xor_b32_e32 v6, 6, v5
	s_cselect_b32 s4, s12, s11
	v_sub_u32_e32 v6, v6, v1
	s_xor_b32 s4, s4, s5
	v_lshlrev_b32_e32 v6, 2, v6
	s_sub_i32 s79, s4, s5
	s_mov_b32 s4, s21
	v_add_lshl_u32 v133, v6, v2, 1
	v_writelane_b32 v254, s4, 23
	v_add_u32_e32 v6, 0x4000, v133
	v_writelane_b32 v254, s20, 24
	v_accvgpr_write_b32 a238, v6
	v_xor_b32_e32 v6, 7, v5
	v_writelane_b32 v254, s21, 25
	v_sub_u32_e32 v6, v6, v1
	v_writelane_b32 v254, s22, 26
	v_lshlrev_b32_e32 v6, 2, v6
	v_writelane_b32 v254, s23, 27
	s_mov_b32 s4, s23
	v_add_lshl_u32 v135, v6, v2, 1
	v_writelane_b32 v254, s4, 28
	s_mov_b32 s4, s25
	v_add_u32_e32 v6, 0x4000, v135
	v_writelane_b32 v254, s4, 29
	s_add_u32 s10, 0, 0
	v_accvgpr_write_b32 a239, v6
	v_xor_b32_e32 v6, 8, v5
	v_writelane_b32 v254, s24, 30
	s_addc_u32 s10, s3, -1
	v_sub_u32_e32 v6, v6, v1
	v_writelane_b32 v254, s25, 31
	s_mul_i32 s5, s39, s6
	s_add_i32 s22, s10, 1
	v_lshlrev_b32_e32 v6, 2, v6
	v_writelane_b32 v254, s26, 32
	s_add_i32 s23, s5, s22
	v_add_lshl_u32 v136, v6, v2, 1
	v_writelane_b32 v254, s27, 33
	s_mov_b32 s4, s27
	s_add_u32 s5, 0, 0
	v_add_u32_e32 v6, 0x4000, v136
	v_writelane_b32 v254, s4, 34
	s_addc_u32 s4, s2, -1
	v_accvgpr_write_b32 a240, v6
	v_xor_b32_e32 v6, 9, v5
	s_mul_i32 s19, s37, s1
	s_mul_i32 s21, s40, s1
	;; [unrolled: 1-line block ×3, first 2 shown]
	s_add_i32 s24, s4, 1
	v_sub_u32_e32 v6, v6, v1
	s_add_i32 s4, s1, s24
	v_lshlrev_b32_e32 v6, 2, v6
	s_cmp_eq_u32 s49, 0
	v_add_lshl_u32 v138, v6, v2, 1
	s_cselect_b64 s[10:11], -1, 0
	s_cmp_lt_i32 s48, 0
	v_add_u32_e32 v6, 0x4000, v138
	s_cselect_b64 s[12:13], -1, 0
	v_accvgpr_write_b32 a241, v6
	v_xor_b32_e32 v6, 10, v5
	s_and_b64 s[14:15], s[12:13], exec
	v_sub_u32_e32 v6, v6, v1
	s_cselect_b32 s14, s0, s48
	s_and_b64 s[0:1], s[10:11], s[12:13]
	v_lshlrev_b32_e32 v6, 2, v6
	s_and_b64 s[0:1], s[0:1], exec
	v_add_lshl_u32 v137, v6, v2, 1
	s_cselect_b32 s5, 0, s50
	v_add_u32_e32 v6, 0x4000, v137
	s_cmp_eq_u32 s5, 0
	v_accvgpr_write_b32 a242, v6
	v_xor_b32_e32 v6, 11, v5
	s_cselect_b64 s[0:1], -1, 0
	s_max_i32 s8, s8, 0
	s_max_i32 s9, s9, 0
	v_sub_u32_e32 v6, v6, v1
	s_cmp_eq_u32 s5, 2
	v_lshlrev_b32_e32 v6, 2, v6
	s_cselect_b32 s10, s8, 0
	s_cselect_b32 s5, s9, 0
	s_bitcmp1_b32 s18, 0
	s_mov_b32 s12, s63
	v_add_lshl_u32 v139, v6, v2, 1
	s_cselect_b64 s[8:9], -1, 0
	v_writelane_b32 v254, s12, 35
	v_add_u32_e32 v6, 0x4000, v139
	s_xor_b64 s[8:9], s[8:9], -1
	v_writelane_b32 v254, s64, 36
	v_accvgpr_write_b32 a243, v6
	v_xor_b32_e32 v6, 12, v5
	s_cmp_lt_i32 s49, 0
	v_writelane_b32 v254, s65, 37
	v_sub_u32_e32 v6, v6, v1
	s_cselect_b32 s57, s16, s49
	s_add_i32 s11, s14, s7
	s_mul_i32 s7, s43, s6
	v_writelane_b32 v254, s66, 38
	v_lshlrev_b32_e32 v6, 2, v6
	s_add_i32 s7, s7, s22
	v_writelane_b32 v254, s67, 39
	s_mov_b32 s12, s67
	v_add_lshl_u32 v140, v6, v2, 1
	s_mul_i32 s20, s38, s6
	v_writelane_b32 v254, s12, 40
	s_lshl_b32 s26, s7, 1
	s_add_i32 s7, s47, -1
	v_add_u32_e32 v6, 0x4000, v140
	v_writelane_b32 v254, s7, 41
	s_add_i32 s7, s2, s20
	v_accvgpr_write_b32 a244, v6
	v_xor_b32_e32 v6, 13, v5
	s_lshl_b32 s14, s7, 1
	v_sub_u32_e32 v6, v6, v1
	v_writelane_b32 v254, s12, 42
	v_lshlrev_b32_e32 v6, 2, v6
	v_writelane_b32 v254, s13, 43
	v_add_lshl_u32 v142, v6, v2, 1
	v_writelane_b32 v254, s14, 44
	v_add_u32_e32 v6, 0x4000, v142
	v_writelane_b32 v254, s15, 45
	s_lshl_b32 s14, s23, 1
	v_accvgpr_write_b32 a245, v6
	v_xor_b32_e32 v6, 14, v5
	v_xor_b32_e32 v5, 15, v5
	v_writelane_b32 v254, s12, 46
	v_sub_u32_e32 v6, v6, v1
	v_sub_u32_e32 v1, v5, v1
	v_writelane_b32 v254, s13, 47
	v_lshlrev_b32_e32 v1, 2, v1
	v_writelane_b32 v254, s14, 48
	s_add_i32 s2, s2, s19
	v_add_lshl_u32 v143, v1, v2, 1
	v_and_b32_e32 v124, 15, v0
	v_writelane_b32 v254, s15, 49
	s_lshl_b32 s7, s39, 3
	v_and_b32_e32 v127, 31, v0
	s_lshl_b32 s74, s2, 1
	s_add_i32 s2, s3, s21
	v_add_u32_e32 v1, 0x4000, v143
	v_and_b32_e32 v0, 47, v0
	v_writelane_b32 v254, s7, 50
	s_lshl_b32 s78, s2, 1
	v_accvgpr_write_b32 a247, v1
	v_accvgpr_write_b32 a249, v0
	v_lshrrev_b32_e32 v0, 6, v4
	v_bfe_u32 v1, v4, 3, 3
	s_ashr_i32 s2, s47, 31
	v_accvgpr_write_b32 a250, v1
	v_lshlrev_b32_e32 v1, 10, v0
	v_writelane_b32 v254, s2, 51
	s_ashr_i32 s2, s44, 31
	buffer_store_dword v1, off, s[96:99], 0 offset:28 ; 4-byte Folded Spill
	v_sub_u32_e32 v1, 0, v0
	v_lshlrev_b32_e32 v0, 11, v0
	v_writelane_b32 v254, s2, 52
	s_abs_i32 s2, s44
	v_accvgpr_write_b32 a253, v0
	v_cvt_f32_u32_e32 v0, s2
	v_writelane_b32 v254, s2, 53
	s_sub_i32 s2, 0, s2
	v_lshlrev_b32_e32 v9, 1, v10
	v_rcp_iflag_f32_e32 v0, v0
	s_add_i32 s28, s57, s17
	v_and_b32_e32 v144, 28, v3
	v_lshlrev_b32_e32 v6, 2, v6
	v_mul_f32_e32 v0, 0x4f7ffffe, v0
	v_cvt_u32_f32_e32 v0, v0
                                        ; implicit-def: $vgpr255 : SGPR spill to VGPR lane
	v_add_lshl_u32 v141, v6, v2, 1
	v_or_b32_e32 v2, 3, v3
	v_writelane_b32 v255, s8, 0
	v_readfirstlane_b32 s3, v0
	s_mul_i32 s2, s2, s3
	s_mul_hi_u32 s2, s3, s2
	s_add_i32 s2, s3, s2
	v_writelane_b32 v254, s2, 54
	s_ashr_i32 s2, s45, 31
	v_writelane_b32 v254, s2, 55
	s_abs_i32 s2, s45
	v_cvt_f32_u32_e32 v0, s2
	v_writelane_b32 v254, s2, 56
	s_sub_i32 s2, 0, s2
	v_writelane_b32 v255, s9, 1
	v_rcp_iflag_f32_e32 v0, v0
	s_movk_i32 s45, 0x80
	s_mov_b64 s[12:13], s[52:53]
	v_writelane_b32 v255, s44, 2
	v_mul_f32_e32 v0, 0x4f7ffffe, v0
	v_cvt_u32_f32_e32 v0, v0
	s_mov_b64 s[14:15], s[54:55]
	v_writelane_b32 v255, s45, 3
	v_cndmask_b32_e64 v152, 0, 1, s[8:9]
	v_readfirstlane_b32 s3, v0
	s_mul_i32 s2, s2, s3
	s_mul_hi_u32 s2, s3, s2
	s_add_i32 s2, s3, s2
	v_or_b32_e32 v0, 17, v9
	v_writelane_b32 v254, s2, 57
	s_lshl_b32 s2, s37, 1
	buffer_store_dword v0, off, s[96:99], 0 offset:36 ; 4-byte Folded Spill
	v_or_b32_e32 v0, 16, v9
	v_writelane_b32 v254, s2, 58
	s_lshl_b32 s2, s37, 5
	buffer_store_dword v0, off, s[96:99], 0 offset:40 ; 4-byte Folded Spill
	v_add_u32_e32 v0, s28, v144
	v_writelane_b32 v254, s2, 59
	s_lshl_b32 s2, s40, 1
	v_accvgpr_write_b32 a251, v0
	v_subrev_u32_e32 v0, s11, v144
	v_writelane_b32 v254, s2, 60
	s_lshl_b32 s2, s40, 5
	v_accvgpr_write_b32 a252, v0
	v_add_u32_e32 v0, s28, v2
	v_writelane_b32 v254, s2, 61
	v_accvgpr_write_b32 a255, v0
	v_subrev_u32_e32 v0, s11, v2
	v_writelane_b32 v254, s11, 62
	v_accvgpr_write_b32 a207, v0
	v_add_u32_e32 v0, s10, v2
	v_accvgpr_write_b32 a213, v0
	v_writelane_b32 v254, s10, 63
	v_add_u32_e32 v0, s10, v144
	v_writelane_b32 v255, s8, 4
	v_writelane_b32 v255, s9, 5
	;; [unrolled: 1-line block ×7, first 2 shown]
	s_mul_i32 s6, s42, s6
	v_writelane_b32 v255, s15, 11
	s_add_i32 s6, s6, s24
	s_mov_b64 s[16:17], s[60:61]
	v_and_b32_e32 v7, 6, v224
	v_add_u32_e32 v6, 0x4000, v141
	s_mul_i32 s53, s41, -3
	v_add_u32_e32 v172, s5, v124
	v_writelane_b32 v255, s72, 12
	s_lshl_b32 s6, s6, 1
	v_accvgpr_write_b32 a206, v10
	v_accvgpr_write_b32 a210, v11
	s_mov_b32 s18, s62
	s_lshl_b32 s22, s34, 2
	v_accvgpr_write_b32 a229, v7
	v_lshlrev_b32_e32 v125, 2, v124
	v_accvgpr_write_b32 a246, v6
	s_lshl_b32 s82, s4, 2
	s_add_i32 s53, s53, 64
	v_lshlrev_b32_e32 v1, 10, v1
	v_accvgpr_write_b32 a228, v9
	v_accvgpr_write_b32 a248, v2
	;; [unrolled: 1-line block ×3, first 2 shown]
	s_mov_b32 s75, 0x20000
	s_mov_b32 s30, 0x1000504
	;; [unrolled: 1-line block ×6, first 2 shown]
	v_mov_b32_e32 v146, 0xff800000
	v_writelane_b32 v255, s73, 13
	v_accvgpr_write_b32 a254, v172
	buffer_store_dword v1, off, s[96:99], 0 offset:32 ; 4-byte Folded Spill
	s_branch .LBB1_4
.LBB1_2:                                ;   in Loop: Header=BB1_4 Depth=1
	v_mov_b32_e32 v0, 0
	v_mov_b32_e32 v1, 0
	;; [unrolled: 1-line block ×128, first 2 shown]
	s_mov_b32 s22, s86
.LBB1_3:                                ;   in Loop: Header=BB1_4 Depth=1
	v_readlane_b32 s2, v254, 35
	s_mul_hi_i32 s3, s68, s2
	s_mul_i32 s2, s68, s2
	s_lshl_b64 s[2:3], s[2:3], 1
	s_add_u32 s4, s72, s2
	v_readlane_b32 s2, v254, 40
	s_addc_u32 s5, s73, s3
	s_mul_hi_i32 s3, s27, s2
	s_mul_i32 s2, s27, s2
	s_lshl_b64 s[2:3], s[2:3], 1
	s_add_u32 s24, s4, s2
	s_addc_u32 s25, s5, s3
	s_mul_hi_i32 s3, s68, s18
	s_mul_i32 s2, s68, s18
	v_readlane_b32 s56, v254, 0
	s_lshl_b64 s[2:3], s[2:3], 1
	v_readlane_b32 s70, v254, 14
	v_readlane_b32 s8, v254, 36
	;; [unrolled: 1-line block ×3, first 2 shown]
	s_add_u32 s4, s70, s2
	v_readlane_b32 s10, v254, 38
	s_addc_u32 s5, s71, s3
	s_mul_hi_i32 s3, s27, s10
	s_mul_i32 s2, s27, s10
	s_lshl_b64 s[2:3], s[2:3], 1
	s_add_u32 s4, s4, s2
	v_readfirstlane_b32 s2, v241
	s_addc_u32 s5, s5, s3
	v_cvt_f16_f32_e32 v0, v0
	v_cvt_f16_f32_sdwa v1, v1 dst_sel:WORD_1 dst_unused:UNUSED_PAD src0_sel:DWORD
	v_cvt_f16_f32_e32 v2, v2
	v_cvt_f16_f32_sdwa v3, v3 dst_sel:WORD_1 dst_unused:UNUSED_PAD src0_sel:DWORD
	s_lshl_b32 s2, s2, 4
	v_cvt_f16_f32_e32 v4, v4
	v_cvt_f16_f32_sdwa v5, v5 dst_sel:WORD_1 dst_unused:UNUSED_PAD src0_sel:DWORD
	v_cvt_f16_f32_e32 v6, v6
	v_cvt_f16_f32_sdwa v7, v7 dst_sel:WORD_1 dst_unused:UNUSED_PAD src0_sel:DWORD
	s_add_i32 s2, s2, s7
	v_cvt_f16_f32_e32 v8, v8
	v_cvt_f16_f32_sdwa v9, v9 dst_sel:WORD_1 dst_unused:UNUSED_PAD src0_sel:DWORD
	v_cvt_f16_f32_e32 v10, v10
	v_cvt_f16_f32_sdwa v11, v11 dst_sel:WORD_1 dst_unused:UNUSED_PAD src0_sel:DWORD
	v_add_u32_e32 v150, s2, v124
	v_cvt_f16_f32_e32 v12, v12
	v_cvt_f16_f32_sdwa v13, v13 dst_sel:WORD_1 dst_unused:UNUSED_PAD src0_sel:DWORD
	v_cvt_f16_f32_e32 v14, v14
	v_cvt_f16_f32_sdwa v15, v15 dst_sel:WORD_1 dst_unused:UNUSED_PAD src0_sel:DWORD
	v_mul_lo_u32 v151, v150, s42
	v_cvt_f16_f32_e32 v16, v16
	v_cvt_f16_f32_sdwa v17, v17 dst_sel:WORD_1 dst_unused:UNUSED_PAD src0_sel:DWORD
	v_cvt_f16_f32_e32 v18, v18
	v_cvt_f16_f32_sdwa v19, v19 dst_sel:WORD_1 dst_unused:UNUSED_PAD src0_sel:DWORD
	v_or_b32_e32 v0, v1, v0
	v_or_b32_e32 v1, v3, v2
	s_mov_b32 s7, s75
	v_add_lshl_u32 v2, v151, v144, 1
	v_cvt_f16_f32_e32 v20, v20
	v_cvt_f16_f32_sdwa v21, v21 dst_sel:WORD_1 dst_unused:UNUSED_PAD src0_sel:DWORD
	v_cvt_f16_f32_e32 v22, v22
	v_cvt_f16_f32_sdwa v23, v23 dst_sel:WORD_1 dst_unused:UNUSED_PAD src0_sel:DWORD
	buffer_store_dwordx2 v[0:1], v2, s[4:7], 0 offen
	v_or_b32_e32 v0, v5, v4
	v_or_b32_e32 v1, v7, v6
	v_cvt_f16_f32_e32 v24, v24
	v_cvt_f16_f32_sdwa v25, v25 dst_sel:WORD_1 dst_unused:UNUSED_PAD src0_sel:DWORD
	v_cvt_f16_f32_e32 v26, v26
	v_cvt_f16_f32_sdwa v27, v27 dst_sel:WORD_1 dst_unused:UNUSED_PAD src0_sel:DWORD
	buffer_store_dwordx2 v[0:1], v2, s[4:7], 0 offen offset:32
	v_or_b32_e32 v0, v9, v8
	v_or_b32_e32 v1, v11, v10
	v_cvt_f16_f32_e32 v28, v28
	v_cvt_f16_f32_sdwa v29, v29 dst_sel:WORD_1 dst_unused:UNUSED_PAD src0_sel:DWORD
	v_cvt_f16_f32_e32 v30, v30
	v_cvt_f16_f32_sdwa v31, v31 dst_sel:WORD_1 dst_unused:UNUSED_PAD src0_sel:DWORD
	buffer_store_dwordx2 v[0:1], v2, s[4:7], 0 offen offset:64
	;; [unrolled: 7-line block ×10, first 2 shown]
	v_or_b32_e32 v0, v53, v52
	v_or_b32_e32 v1, v55, v54
	buffer_store_dwordx2 v[0:1], v2, s[4:7], 0 offen offset:352
	v_or_b32_e32 v0, v113, v56
	v_or_b32_e32 v1, v115, v114
	buffer_store_dwordx2 v[0:1], v2, s[4:7], 0 offen offset:384
	;; [unrolled: 3-line block ×5, first 2 shown]
	v_cvt_f16_f32_e32 v0, v32
	v_cvt_f16_f32_sdwa v1, v33 dst_sel:WORD_1 dst_unused:UNUSED_PAD src0_sel:DWORD
	v_cvt_f16_f32_e32 v2, v34
	v_cvt_f16_f32_sdwa v3, v35 dst_sel:WORD_1 dst_unused:UNUSED_PAD src0_sel:DWORD
	;; [unrolled: 2-line block ×8, first 2 shown]
	v_cvt_f16_f32_e32 v62, v64
	v_mul_lo_u32 v64, v150, s43
	v_cvt_f16_f32_e32 v16, v85
	v_cvt_f16_f32_sdwa v17, v87 dst_sel:WORD_1 dst_unused:UNUSED_PAD src0_sel:DWORD
	v_cvt_f16_f32_e32 v18, v84
	v_cvt_f16_f32_sdwa v19, v88 dst_sel:WORD_1 dst_unused:UNUSED_PAD src0_sel:DWORD
	v_or_b32_e32 v0, v1, v0
	v_or_b32_e32 v1, v3, v2
	s_mov_b32 s27, s75
	v_add_lshl_u32 v2, v64, v144, 1
	v_cvt_f16_f32_e32 v20, v83
	v_cvt_f16_f32_sdwa v21, v89 dst_sel:WORD_1 dst_unused:UNUSED_PAD src0_sel:DWORD
	v_cvt_f16_f32_e32 v22, v82
	v_cvt_f16_f32_sdwa v23, v90 dst_sel:WORD_1 dst_unused:UNUSED_PAD src0_sel:DWORD
	buffer_store_dwordx2 v[0:1], v2, s[24:27], 0 offen
	v_or_b32_e32 v0, v5, v4
	v_or_b32_e32 v1, v7, v6
	v_cvt_f16_f32_e32 v24, v81
	v_cvt_f16_f32_sdwa v25, v91 dst_sel:WORD_1 dst_unused:UNUSED_PAD src0_sel:DWORD
	v_cvt_f16_f32_e32 v26, v80
	v_cvt_f16_f32_sdwa v27, v92 dst_sel:WORD_1 dst_unused:UNUSED_PAD src0_sel:DWORD
	buffer_store_dwordx2 v[0:1], v2, s[24:27], 0 offen offset:32
	v_or_b32_e32 v0, v9, v8
	v_or_b32_e32 v1, v11, v10
	v_cvt_f16_f32_e32 v28, v79
	v_cvt_f16_f32_sdwa v29, v93 dst_sel:WORD_1 dst_unused:UNUSED_PAD src0_sel:DWORD
	v_cvt_f16_f32_e32 v30, v78
	v_cvt_f16_f32_sdwa v31, v96 dst_sel:WORD_1 dst_unused:UNUSED_PAD src0_sel:DWORD
	buffer_store_dwordx2 v[0:1], v2, s[24:27], 0 offen offset:64
	;; [unrolled: 7-line block ×9, first 2 shown]
	v_or_b32_e32 v0, v41, v40
	v_or_b32_e32 v1, v43, v42
	v_cvt_f16_f32_e32 v60, v65
	v_cvt_f16_f32_sdwa v61, v111 dst_sel:WORD_1 dst_unused:UNUSED_PAD src0_sel:DWORD
	v_cvt_f16_f32_sdwa v63, v112 dst_sel:WORD_1 dst_unused:UNUSED_PAD src0_sel:DWORD
	buffer_store_dwordx2 v[0:1], v2, s[24:27], 0 offen offset:320
	v_or_b32_e32 v0, v45, v44
	v_or_b32_e32 v1, v47, v46
	buffer_store_dwordx2 v[0:1], v2, s[24:27], 0 offen offset:352
	v_or_b32_e32 v0, v49, v48
	v_or_b32_e32 v1, v51, v50
	;; [unrolled: 3-line block ×4, first 2 shown]
	s_add_i32 s92, s92, 1
	v_readlane_b32 s2, v254, 20
	buffer_store_dwordx2 v[0:1], v2, s[24:27], 0 offen offset:448
	v_or_b32_e32 v0, v61, v60
	v_or_b32_e32 v1, v63, v62
	s_cmp_lt_i32 s92, s2
	v_readlane_b32 s57, v254, 1
	v_readlane_b32 s58, v254, 2
	;; [unrolled: 1-line block ×15, first 2 shown]
	buffer_store_dwordx2 v[0:1], v2, s[24:27], 0 offen offset:480
	s_cbranch_scc0 .LBB1_25
.LBB1_4:                                ; =>This Loop Header: Depth=1
                                        ;     Child Loop BB1_16 Depth 2
	s_ashr_i32 s2, s92, 31
	v_readlane_b32 s3, v254, 51
	s_xor_b32 s2, s2, s3
	s_abs_i32 s3, s92
	v_readlane_b32 s4, v254, 21
	s_mul_hi_u32 s4, s3, s4
	v_readlane_b32 s8, v254, 22
	s_mul_i32 s5, s4, s8
	s_sub_i32 s3, s3, s5
	s_add_i32 s5, s4, 1
	s_sub_i32 s7, s3, s8
	s_cmp_ge_u32 s3, s8
	s_cselect_b32 s4, s5, s4
	s_cselect_b32 s3, s7, s3
	s_add_i32 s5, s4, 1
	s_cmp_ge_u32 s3, s8
	s_cselect_b32 s3, s5, s4
	s_xor_b32 s3, s3, s2
	s_sub_i32 s4, s3, s2
	s_mul_i32 s2, s4, s47
	s_sub_i32 s8, s92, s2
	s_bitcmp1_b32 s8, 0
	s_cselect_b64 s[2:3], -1, 0
	s_and_b64 vcc, exec, s[2:3]
	s_mov_b64 s[2:3], -1
                                        ; implicit-def: $sgpr5
	s_cbranch_vccz .LBB1_6
; %bb.5:                                ;   in Loop: Header=BB1_4 Depth=1
	s_lshr_b32 s2, s8, 31
	s_add_i32 s2, s8, s2
	s_ashr_i32 s2, s2, 1
	v_readlane_b32 s3, v254, 41
	s_sub_i32 s5, s3, s2
	s_mov_b64 s[2:3], 0
.LBB1_6:                                ;   in Loop: Header=BB1_4 Depth=1
	s_mov_b32 s86, s22
	s_andn2_b64 vcc, exec, s[2:3]
	s_cbranch_vccnz .LBB1_8
; %bb.7:                                ;   in Loop: Header=BB1_4 Depth=1
	s_ashr_i32 s5, s8, 1
.LBB1_8:                                ;   in Loop: Header=BB1_4 Depth=1
	s_ashr_i32 s2, s4, 31
	v_readlane_b32 s3, v254, 52
	s_xor_b32 s2, s2, s3
	s_abs_i32 s3, s4
	v_readlane_b32 s7, v254, 54
	s_mul_hi_u32 s7, s3, s7
	v_readlane_b32 s11, v254, 53
	s_mul_i32 s9, s7, s11
	s_sub_i32 s3, s3, s9
	s_add_i32 s9, s7, 1
	s_sub_i32 s10, s3, s11
	s_cmp_ge_u32 s3, s11
	s_cselect_b32 s7, s9, s7
	s_cselect_b32 s3, s10, s3
	s_add_i32 s9, s7, 1
	s_cmp_ge_u32 s3, s11
	s_cselect_b32 s3, s9, s7
	s_xor_b32 s3, s3, s2
	s_sub_i32 s27, s3, s2
	s_mul_i32 s10, s27, s44
	s_mul_i32 s2, s27, s51
	s_sub_i32 s68, s4, s10
	s_ashr_i32 s3, s2, 31
	s_lshl_b32 s7, s5, 6
	s_ashr_i32 s69, s68, 31
	s_lshl_b64 s[2:3], s[2:3], 2
	v_readlane_b32 s4, v254, 16
	v_readlane_b32 s5, v254, 17
	s_add_u32 s4, s4, s2
	s_addc_u32 s5, s5, s3
	s_lshl_b64 s[2:3], s[68:69], 2
	v_readlane_b32 s20, v255, 0
	s_add_u32 s4, s4, s2
	v_readlane_b32 s21, v255, 1
	s_addc_u32 s5, s5, s3
	v_cmp_ne_u32_e64 s[2:3], 1, v152
	s_andn2_b64 vcc, exec, s[20:21]
	v_pk_mov_b32 v[0:1], s[12:13], s[12:13] op_sel:[0,1]
	s_cbranch_vccnz .LBB1_10
; %bb.9:                                ;   in Loop: Header=BB1_4 Depth=1
	v_pk_mov_b32 v[0:1], s[12:13], s[12:13] op_sel:[0,1]
	flat_load_dwordx2 v[0:1], v[0:1]
.LBB1_10:                               ;   in Loop: Header=BB1_4 Depth=1
	s_and_b64 vcc, exec, s[2:3]
	v_pk_mov_b32 v[2:3], s[14:15], s[14:15] op_sel:[0,1]
	s_cbranch_vccnz .LBB1_12
; %bb.11:                               ;   in Loop: Header=BB1_4 Depth=1
	v_pk_mov_b32 v[2:3], s[14:15], s[14:15] op_sel:[0,1]
	flat_load_dwordx2 v[2:3], v[2:3]
.LBB1_12:                               ;   in Loop: Header=BB1_4 Depth=1
	s_cmp_lg_u32 s8, 0
	s_cselect_b32 s79, s79, 0
	s_add_i32 s10, s10, s68
	s_lshl_b32 s2, s10, 6
	s_ashr_i32 s3, s2, 31
	s_waitcnt vmcnt(0) lgkmcnt(0)
	v_readfirstlane_b32 s46, v1
	v_mov_b32_e32 v1, s3
	v_add_co_u32_e32 v2, vcc, s2, v2
	v_addc_co_u32_e32 v1, vcc, v3, v1, vcc
	s_sub_i32 s2, s7, s28
	s_max_i32 vcc_lo, s2, -1
	v_readlane_b32 s2, v254, 62
	s_add_i32 s83, s7, s2
	s_add_i32 s2, s83, 63
	s_min_i32 s2, s2, s34
	s_add_i32 s2, s2, 15
	s_ashr_i32 s3, s2, 31
	s_lshr_b32 s3, s3, 28
	s_add_i32 vcc_lo, vcc_lo, 1
	s_add_i32 s2, s2, s3
	s_and_b32 s10, vcc_lo, -16
	s_and_b32 s2, s2, -16
	s_sub_i32 s2, s2, s10
	s_ashr_i32 s3, s2, 31
	s_lshr_b32 s3, s3, 28
	s_or_b32 s2, s3, s2
	s_add_i32 s2, s2, 15
	s_ashr_i32 s9, s27, 31
	s_ashr_i32 vcc_hi, s2, 4
	v_readfirstlane_b32 s55, v2
	v_readfirstlane_b32 s33, v1
	;; [unrolled: 1-line block ×3, first 2 shown]
	s_cmp_lt_i32 vcc_hi, 1
	v_readfirstlane_b32 s8, v241
	s_cbranch_scc1 .LBB1_2
; %bb.13:                               ;   in Loop: Header=BB1_4 Depth=1
	v_mov_b32_e32 v0, 0
	global_load_dword v0, v0, s[4:5]
	v_readlane_b32 s12, v254, 30
	s_mul_hi_i32 s5, s68, s12
	s_mul_i32 s4, s68, s12
	v_readlane_b32 s14, v254, 32
	s_lshl_b64 s[4:5], s[4:5], 1
	s_mov_b64 s[80:81], s[68:69]
	v_readlane_b32 s56, v254, 0
	v_readlane_b32 s15, v254, 33
	s_mov_b32 s22, s14
	v_readlane_b32 s57, v254, 1
	s_add_u32 s14, s56, s4
	v_readlane_b32 s13, v254, 31
	s_mov_b32 s44, s10
	s_addc_u32 s15, s57, s5
	s_abs_i32 s5, s80
	v_readlane_b32 s10, v254, 57
	s_mul_hi_u32 s10, s5, s10
	v_readlane_b32 s13, v254, 56
	s_mul_i32 s11, s10, s13
	v_readlane_b32 s4, v254, 55
	s_sub_i32 s5, s5, s11
	s_xor_b32 s4, s81, s4
	s_add_i32 s11, s10, 1
	s_sub_i32 s12, s5, s13
	s_cmp_ge_u32 s5, s13
	s_cselect_b32 s10, s11, s10
	s_cselect_b32 s5, s12, s5
	s_add_i32 s11, s10, 1
	s_cmp_ge_u32 s5, s13
	s_cselect_b32 s5, s11, s10
	s_xor_b32 s5, s5, s4
	s_sub_i32 s10, s5, s4
	v_readlane_b32 s4, v254, 29
	s_mul_hi_i32 s5, s10, s4
	s_mul_i32 s4, s10, s4
	v_readlane_b32 s58, v254, 2
	s_lshl_b64 s[4:5], s[4:5], 1
	s_mov_b32 s90, s18
	v_readlane_b32 s59, v254, 3
	s_mov_b64 s[88:89], s[16:17]
	s_add_u32 s16, s58, s4
	s_addc_u32 s17, s59, s5
	s_mul_hi_i32 s5, s10, s22
	s_mul_i32 s4, s10, s22
	v_readlane_b32 s60, v254, 4
	s_lshl_b64 s[4:5], s[4:5], 1
	v_readlane_b32 s61, v254, 5
	s_add_u32 s18, s60, s4
	v_readlane_b32 s4, v254, 19
	s_addc_u32 s19, s61, s5
	s_mul_hi_i32 s5, s80, s4
	s_mul_i32 s4, s80, s4
	v_readlane_b32 s62, v254, 6
	s_lshl_b64 s[4:5], s[4:5], 2
	v_readlane_b32 s63, v254, 7
	s_add_u32 s20, s62, s4
	v_readlane_b32 s66, v254, 10
	s_addc_u32 s21, s63, s5
	v_readlane_b32 s67, v254, 11
	s_add_u32 s22, s66, s4
	v_readlane_b32 s4, v254, 34
	s_addc_u32 s23, s67, s5
	s_mul_hi_i32 s5, s80, s4
	s_mul_i32 s4, s80, s4
	v_readlane_b32 s64, v254, 8
	s_lshl_b64 s[4:5], s[4:5], 1
	v_readlane_b32 s65, v254, 9
	s_add_u32 s24, s64, s4
	v_readlane_b32 s56, v254, 24
	s_addc_u32 s29, s65, s5
	s_mul_hi_i32 s5, s27, s56
	s_mul_i32 s4, s27, s56
	v_readlane_b32 s58, v254, 26
	s_lshl_b64 s[4:5], s[4:5], 1
	s_mul_hi_i32 s11, s27, s58
	s_mul_i32 s10, s27, s58
	s_add_u32 s72, s14, s4
	s_addc_u32 s73, s15, s5
	s_lshl_b64 s[4:5], s[10:11], 1
	v_readlane_b32 s60, v254, 46
	s_mul_hi_i32 s3, s27, s91
	s_mul_i32 s2, s27, s91
	v_readlane_b32 s57, v254, 25
	v_readlane_b32 s59, v254, 27
	;; [unrolled: 1-line block ×3, first 2 shown]
	s_add_u32 s60, s18, s4
	s_addc_u32 s61, s19, s5
	s_lshl_b64 s[2:3], s[2:3], 2
	v_readlane_b32 s56, v254, 36
	s_add_u32 s84, s22, s2
	v_readlane_b32 s4, v254, 23
	v_readlane_b32 s57, v254, 37
	s_mul_i32 s9, s56, s9
	s_mul_hi_u32 s10, s56, s27
	s_addc_u32 s85, s23, s3
	s_mul_hi_i32 s5, s27, s4
	s_mul_i32 s4, s27, s4
	v_readlane_b32 s58, v254, 38
	v_readlane_b32 s59, v254, 39
	s_add_i32 s9, s10, s9
	s_mul_i32 s10, s57, s27
	s_add_i32 s11, s9, s10
	s_mul_i32 s10, s56, s27
	s_lshl_b64 s[4:5], s[4:5], 1
	v_readlane_b32 s56, v254, 42
	v_readlane_b32 s57, v254, 43
	s_add_u32 s56, s16, s4
	v_readlane_b32 s12, v254, 28
	s_addc_u32 s57, s17, s5
	s_mul_hi_i32 s13, s27, s12
	s_mul_i32 s12, s27, s12
	s_add_u32 s20, s20, s2
	s_addc_u32 s21, s21, s3
	s_lshl_b64 s[2:3], s[12:13], 1
	s_add_u32 s76, s24, s2
	v_readlane_b32 s2, v254, 18
	s_addc_u32 s77, s29, s3
	s_mul_hi_i32 s3, s79, s2
	s_mul_i32 s2, s79, s2
	v_readlane_b32 s68, v254, 12
	s_lshl_b64 s[2:3], s[2:3], 2
	v_readlane_b32 s69, v254, 13
	s_add_u32 s4, s68, s2
	s_mov_b64 s[16:17], s[88:89]
	s_addc_u32 s5, s69, s3
	s_mov_b64 s[68:69], s[80:81]
	s_mul_i32 s2, s16, s69
	s_mul_hi_u32 s3, s16, s68
	s_add_i32 s2, s3, s2
	s_mul_i32 s3, s17, s68
	s_add_i32 s3, s2, s3
	s_mul_i32 s2, s16, s68
	s_lshl_b64 s[2:3], s[2:3], 2
	s_add_u32 s4, s4, s2
	s_addc_u32 s5, s5, s3
	s_lshl_b64 s[2:3], s[10:11], 2
	s_add_u32 s80, s4, s2
	s_addc_u32 s81, s5, s3
	s_mov_b32 s2, 0x652b82fe
	s_waitcnt vmcnt(0)
	v_cvt_f64_f32_e32 v[0:1], v0
	s_mov_b32 s3, 0x3ff71547
	v_mul_f64 v[0:1], v[0:1], s[2:3]
	v_cvt_f32_f64_e32 v0, v[0:1]
	v_cndmask_b32_e64 v145, -v0, v0, s[0:1]
	buffer_load_dword v0, off, s[96:99], 0  ; 4-byte Folded Reload
	s_lshl_b32 s2, s8, 4
	s_add_i32 s2, s2, s7
	v_accvgpr_read_b32 v108, a208
	v_readlane_b32 s58, v254, 44
	s_mov_b32 s10, s58
	v_readlane_b32 s70, v254, 14
	v_readlane_b32 s71, v254, 15
	;; [unrolled: 1-line block ×5, first 2 shown]
	v_accvgpr_read_b32 v2, a206
	v_writelane_b32 v254, s8, 42
	v_writelane_b32 v254, s9, 43
	;; [unrolled: 1-line block ×4, first 2 shown]
	s_mov_b32 s63, s75
	s_mov_b32 s59, s75
	v_accvgpr_write_b32 a215, v152
	v_accvgpr_read_b32 v155, a219
	v_accvgpr_read_b32 v156, a220
	;; [unrolled: 1-line block ×3, first 2 shown]
	s_mov_b32 s10, s62
	v_accvgpr_read_b32 v118, a229
	s_mov_b32 s22, s86
	s_mov_b32 s19, s79
	s_mov_b32 s23, s75
	s_mov_b32 s79, s75
	s_mov_b32 s87, s75
	s_movk_i32 s66, 0x6000
	v_accvgpr_read_b32 v158, a230
	s_movk_i32 s70, 0x2000
	s_movk_i32 s15, 0x4000
	s_mov_b32 s18, s90
	v_accvgpr_write_b32 a209, v224
	s_waitcnt vmcnt(0)
	v_add_u32_e32 v0, s2, v0
	v_mad_u64_u32 v[4:5], s[2:3], v0, s38, v[108:109]
	v_readfirstlane_b32 s2, v241
	s_lshl_b32 s3, s2, 4
	v_and_or_b32 v0, s3, 48, v124
	v_and_b32_e32 v97, 31, v0
	v_lshlrev_b32_e32 v1, 8, v0
	v_lshrrev_b32_e32 v98, 3, v0
	v_accvgpr_read_b32 v0, a212
	v_xor_b32_e32 v99, v98, v0
	buffer_load_dword v0, off, s[96:99], 0 offset:4 ; 4-byte Folded Reload
	v_lshl_add_u32 v96, s2, 1, v2
	v_xor_b32_e32 v88, v97, v224
	v_lshl_or_b32 v89, v88, 3, v1
	v_add_u32_e32 v1, s7, v96
	v_mad_u64_u32 v[32:33], s[4:5], v1, s39, v[108:109]
	v_readlane_b32 s4, v254, 50
	v_add_u32_e32 v8, s38, v4
	v_lshlrev_b32_e32 v33, 1, v32
	v_add_u32_e32 v32, s4, v32
	v_add_u32_e32 v12, s38, v8
	buffer_load_dwordx4 v[60:63], v33, s[60:63], 0 offen
	v_lshlrev_b32_e32 v33, 1, v32
	v_add_u32_e32 v32, s4, v32
	v_add_u32_e32 v16, s38, v12
	buffer_load_dwordx4 v[56:59], v33, s[60:63], 0 offen
	;; [unrolled: 4-line block ×5, first 2 shown]
	v_lshlrev_b32_e32 v33, 1, v32
	v_add_u32_e32 v32, s4, v32
	buffer_load_dwordx4 v[44:47], v33, s[60:63], 0 offen
	v_lshlrev_b32_e32 v33, 1, v32
	v_add_lshl_u32 v32, v32, s4, 1
	buffer_load_dwordx4 v[36:39], v33, s[60:63], 0 offen
	s_mov_b32 s4, 0x8000
	v_lshlrev_b32_e32 v101, 1, v89
	v_accvgpr_read_b32 v109, a223
	v_writelane_b32 v254, s8, 46
	v_writelane_b32 v254, s9, 47
	;; [unrolled: 1-line block ×4, first 2 shown]
	s_bfe_i32 s5, s2, 0x1001d
	s_waitcnt vmcnt(7)
	v_lshl_or_b32 v100, v99, 3, v0
	v_lshlrev_b32_e32 v0, 1, v4
	v_lshlrev_b32_e32 v4, 1, v8
	;; [unrolled: 1-line block ×7, first 2 shown]
	v_add_lshl_u32 v28, v28, s38, 1
	buffer_load_dwordx4 v[0:3], v0, s[56:59], 0 offen
	s_nop 0
	buffer_load_dwordx4 v[4:7], v4, s[56:59], 0 offen
	s_waitcnt vmcnt(0)
	v_perm_b32 v76, v1, v5, s31
	buffer_load_dwordx4 v[8:11], v8, s[56:59], 0 offen
	v_perm_b32 v80, v2, v6, s30
	buffer_load_dwordx4 v[12:15], v12, s[56:59], 0 offen
	;; [unrolled: 2-line block ×3, first 2 shown]
	s_waitcnt vmcnt(1)
	v_perm_b32 v81, v10, v14, s30
	buffer_load_dwordx4 v[20:23], v20, s[56:59], 0 offen
	v_perm_b32 v85, v10, v14, s31
	buffer_load_dwordx4 v[24:27], v24, s[56:59], 0 offen
	;; [unrolled: 2-line block ×3, first 2 shown]
	s_nop 0
	buffer_load_dwordx4 v[32:35], v32, s[60:63], 0 offen
	s_nop 0
	buffer_load_dword v64, off, s[96:99], 0 offset:8 ; 4-byte Folded Reload
	v_perm_b32 v77, v9, v13, s31
	s_mov_b32 s57, s44
	s_waitcnt vmcnt(4)
	v_perm_b32 v74, v17, v21, s30
	v_perm_b32 v78, v17, v21, s31
	;; [unrolled: 1-line block ×4, first 2 shown]
	s_waitcnt vmcnt(2)
	v_perm_b32 v75, v25, v29, s30
	s_waitcnt vmcnt(0)
	v_add_u32_e32 v90, s3, v64
	v_ashrrev_i32_e32 v91, 31, v90
	v_lshrrev_b32_e32 v64, 27, v91
	v_add_u32_e32 v65, v90, v64
	v_or_b32_e32 v68, 1, v90
	v_and_b32_e32 v65, 0xffffffe0, v65
	v_add_u32_e32 v69, v68, v64
	v_sub_u32_e32 v65, v90, v65
	v_and_b32_e32 v69, 0xffffffe0, v69
	v_xor_b32_e32 v65, v65, v127
	v_lshlrev_b32_e32 v66, 8, v90
	v_sub_u32_e32 v68, v68, v69
	v_lshl_add_u32 v66, v65, 3, v66
	v_xor_b32_e32 v68, v68, v127
	v_lshlrev_b32_e32 v67, 1, v66
	v_sub_u32_e32 v65, v68, v65
	ds_write_b128 v67, v[0:3]
	v_lshl_add_u32 v66, v65, 3, v66
	v_lshl_add_u32 v65, v65, 4, v67
	v_or_b32_e32 v67, 2, v90
	v_or_b32_e32 v70, 3, v90
	v_add_u32_e32 v69, v67, v64
	v_add_u32_e32 v71, v70, v64
	v_and_b32_e32 v69, 0xffffffe0, v69
	v_and_b32_e32 v71, 0xffffffe0, v71
	v_sub_u32_e32 v67, v67, v69
	v_sub_u32_e32 v70, v70, v71
	v_xor_b32_e32 v67, v67, v127
	v_xor_b32_e32 v70, v70, v127
	v_sub_u32_e32 v68, v67, v68
	v_sub_u32_e32 v67, v70, v67
	v_lshlrev_b32_e32 v69, 3, v68
	v_lshlrev_b32_e32 v71, 3, v67
	;; [unrolled: 1-line block ×3, first 2 shown]
	s_movk_i32 s3, 0x200
	ds_write_b128 v65, v[4:7] offset:512
	v_add3_u32 v66, v66, v69, v71
	v_add3_u32 v65, v65, s3, v68
	v_or_b32_e32 v68, 4, v90
	v_or_b32_e32 v71, 5, v90
	v_add_u32_e32 v69, v68, v64
	v_add_u32_e32 v72, v71, v64
	v_and_b32_e32 v69, 0xffffffe0, v69
	v_and_b32_e32 v72, 0xffffffe0, v72
	v_sub_u32_e32 v68, v68, v69
	v_sub_u32_e32 v71, v71, v72
	v_xor_b32_e32 v68, v68, v127
	v_xor_b32_e32 v71, v71, v127
	v_sub_u32_e32 v69, v68, v70
	v_sub_u32_e32 v68, v71, v68
	v_lshlrev_b32_e32 v67, 4, v67
	ds_write_b128 v65, v[8:11] offset:512
	v_lshlrev_b32_e32 v70, 3, v69
	v_lshlrev_b32_e32 v72, 3, v68
	v_add3_u32 v65, v65, s3, v67
	v_or_b32_e32 v67, 6, v90
	v_add3_u32 v66, v66, v70, v72
	v_add_u32_e32 v70, v67, v64
	v_and_b32_e32 v70, 0xffffffe0, v70
	v_sub_u32_e32 v67, v67, v70
	v_xor_b32_e32 v67, v67, v127
	v_lshlrev_b32_e32 v69, 4, v69
	ds_write_b128 v65, v[12:15] offset:512
	v_sub_u32_e32 v70, v67, v71
	v_add3_u32 v65, v65, s3, v69
	v_lshlrev_b32_e32 v68, 4, v68
	ds_write_b128 v65, v[16:19] offset:512
	v_add3_u32 v65, v65, s3, v68
	v_lshlrev_b32_e32 v68, 4, v70
	ds_write_b128 v65, v[20:23] offset:512
	v_add3_u32 v65, v65, s3, v68
	ds_write_b128 v65, v[24:27] offset:512
	v_or_b32_e32 v65, 7, v90
	v_add_u32_e32 v64, v65, v64
	v_and_b32_e32 v64, 0xfffffe0, v64
	v_sub_u32_e32 v64, v65, v64
	v_perm_b32 v65, v8, v12, s30
	v_perm_b32 v69, v8, v12, s31
	v_lshrrev_b32_e32 v8, 28, v91
	v_add_u32_e32 v8, v90, v8
	v_and_b32_e32 v10, 0xf0, v8
	v_perm_b32 v72, v1, v5, s30
	v_perm_b32 v1, v11, v15, s30
	v_perm_b32 v5, v11, v15, s31
	v_ashrrev_i32_e32 v9, 4, v8
	v_sub_u32_e32 v10, v90, v10
	v_mov_b32_e32 v11, 3
	v_ashrrev_i32_e32 v8, 31, v8
	v_ashrrev_i16_sdwa v10, v11, sext(v10) dst_sel:DWORD dst_unused:UNUSED_PAD src0_sel:DWORD src1_sel:BYTE_0
	v_lshlrev_b32_e32 v11, 3, v9
	v_lshrrev_b32_e32 v8, 27, v8
	v_add_u32_e32 v12, v11, v8
	v_and_b32_e32 v12, 0xffffffe0, v12
	v_sub_u32_e32 v12, v11, v12
	v_xor_b32_e32 v12, v12, v127
	v_mov_b32_e32 v13, 13
	v_lshlrev_b32_sdwa v10, v13, sext(v10) dst_sel:DWORD dst_unused:UNUSED_PAD src0_sel:DWORD src1_sel:WORD_0
	v_lshlrev_b32_e32 v9, 11, v9
	v_lshlrev_b32_e32 v13, 3, v12
	v_add3_u32 v9, v10, v9, v13
	v_or_b32_e32 v13, 1, v11
	v_add_u32_e32 v14, v13, v8
	v_and_b32_e32 v14, 0xffffffe0, v14
	v_lshlrev_b32_e32 v71, 3, v70
	v_xor_b32_e32 v64, v64, v127
	v_sub_u32_e32 v13, v13, v14
	v_add_lshl_u32 v66, v66, v71, 1
	v_sub_u32_e32 v64, v64, v67
	v_xor_b32_e32 v13, v13, v127
	v_lshl_add_u32 v64, v64, 4, v66
	v_sub_u32_e32 v12, v13, v12
	ds_write_b128 v64, v[28:31] offset:3584
	v_perm_b32 v64, v0, v4, s30
	v_perm_b32 v66, v16, v20, s30
	v_perm_b32 v67, v24, v28, s30
	v_lshlrev_b32_e32 v10, 1, v9
	v_lshl_add_u32 v9, v12, 3, v9
	v_lshlrev_b32_e32 v12, 4, v12
	ds_write_b128 v10, v[64:67] offset:32768
	v_add3_u32 v10, v10, s4, v12
	v_or_b32_e32 v12, 2, v11
	v_or_b32_e32 v15, 3, v11
	v_perm_b32 v70, v16, v20, s31
	v_add_u32_e32 v14, v12, v8
	v_add_u32_e32 v16, v15, v8
	v_and_b32_e32 v14, 0xffffffe0, v14
	v_and_b32_e32 v16, 0xffffffe0, v16
	v_sub_u32_e32 v12, v12, v14
	v_sub_u32_e32 v15, v15, v16
	v_xor_b32_e32 v12, v12, v127
	v_xor_b32_e32 v15, v15, v127
	v_sub_u32_e32 v13, v12, v13
	v_sub_u32_e32 v12, v15, v12
	v_perm_b32 v68, v0, v4, s31
	v_perm_b32 v71, v24, v28, s31
	v_lshlrev_b32_e32 v14, 3, v13
	v_lshlrev_b32_e32 v16, 3, v12
	;; [unrolled: 1-line block ×3, first 2 shown]
	ds_write_b128 v10, v[68:71] offset:512
	v_add3_u32 v9, v9, v14, v16
	v_add3_u32 v10, v10, s3, v13
	v_or_b32_e32 v13, 4, v11
	v_or_b32_e32 v16, 5, v11
	v_add_u32_e32 v14, v13, v8
	v_add_u32_e32 v17, v16, v8
	v_and_b32_e32 v14, 0xffffffe0, v14
	v_and_b32_e32 v17, 0xffffffe0, v17
	v_sub_u32_e32 v13, v13, v14
	v_sub_u32_e32 v16, v16, v17
	v_xor_b32_e32 v13, v13, v127
	v_xor_b32_e32 v16, v16, v127
	v_sub_u32_e32 v14, v13, v15
	v_sub_u32_e32 v13, v16, v13
	v_lshlrev_b32_e32 v12, 4, v12
	ds_write_b128 v10, v[72:75] offset:512
	v_lshlrev_b32_e32 v15, 3, v14
	v_lshlrev_b32_e32 v17, 3, v13
	v_add3_u32 v10, v10, s3, v12
	v_or_b32_e32 v12, 6, v11
	v_add3_u32 v9, v9, v15, v17
	v_add_u32_e32 v15, v12, v8
	v_and_b32_e32 v15, 0xffffffe0, v15
	v_sub_u32_e32 v12, v12, v15
	v_perm_b32 v79, v25, v29, s31
	v_xor_b32_e32 v12, v12, v127
	v_lshlrev_b32_e32 v14, 4, v14
	v_perm_b32 v83, v26, v30, s30
	ds_write_b128 v10, v[76:79] offset:512
	v_sub_u32_e32 v15, v12, v16
	v_add3_u32 v10, v10, s3, v14
	v_lshlrev_b32_e32 v13, 4, v13
	v_perm_b32 v87, v26, v30, s31
	ds_write_b128 v10, v[80:83] offset:512
	v_add3_u32 v10, v10, s3, v13
	v_lshlrev_b32_e32 v13, 4, v15
	v_perm_b32 v0, v3, v7, s30
	v_perm_b32 v4, v3, v7, s31
	;; [unrolled: 1-line block ×4, first 2 shown]
	ds_write_b128 v10, v[84:87] offset:512
	v_add3_u32 v10, v10, s3, v13
	ds_write_b128 v10, v[0:3] offset:512
	v_or_b32_e32 v0, 7, v11
	v_add_u32_e32 v1, v0, v8
	v_and_b32_e32 v1, 0xfffffe0, v1
	v_sub_u32_e32 v0, v0, v1
	v_lshlrev_b32_e32 v16, 3, v15
	v_xor_b32_e32 v0, v0, v127
	v_add_lshl_u32 v9, v9, v16, 1
	v_sub_u32_e32 v0, v0, v12
	v_perm_b32 v6, v19, v23, s31
	v_perm_b32 v7, v27, v31, s31
	v_lshl_add_u32 v0, v0, 4, v9
	ds_write_b128 v0, v[4:7] offset:36352
	s_waitcnt lgkmcnt(0)
	s_barrier
	buffer_load_dword v151, off, s[96:99], 0 offset:12 ; 4-byte Folded Reload
	buffer_load_dword v152, off, s[96:99], 0 offset:16 ; 4-byte Folded Reload
	;; [unrolled: 1-line block ×4, first 2 shown]
	v_xor_b32_e32 v4, v98, v109
	ds_read_b128 v[84:87], v101
	v_or_b32_e32 v7, 8, v98
	v_accvgpr_read_b32 v28, a225
	v_accvgpr_read_b32 v13, a224
	v_xor_b32_e32 v8, v7, v28
	v_accvgpr_read_b32 v29, a226
	v_xor_b32_e32 v9, v7, v109
	v_or_b32_e32 v11, 16, v98
	v_sub_u32_e32 v7, v9, v8
	v_xor_b32_e32 v12, v11, v28
	v_lshl_add_u32 v7, v7, 3, v13
	v_sub_u32_e32 v9, v12, v9
	v_xor_b32_e32 v11, v11, v109
	v_lshl_add_u32 v9, v9, 3, v29
	v_sub_u32_e32 v12, v11, v12
	v_lshl_add_u32 v12, v12, 3, v13
	s_movk_i32 s3, 0x1000
	s_lshl_b32 s4, s2, 2
	v_add_u32_e32 v118, s4, v118
	v_ashrrev_i32_e32 v119, 31, v118
	v_lshrrev_b32_e32 v120, 27, v119
	v_add_u32_e32 v121, v118, v120
	v_and_b32_e32 v121, 0xffffffe0, v121
	v_sub_u32_e32 v121, v118, v121
	v_xor_b32_e32 v121, v121, v127
	v_lshlrev_b32_e32 v122, 3, v121
	v_lshlrev_b32_e32 v123, 8, v118
	v_add_lshl_u32 v122, v122, v123, 1
	v_or_b32_e32 v123, 1, v118
	v_add_u32_e32 v120, v123, v120
	v_and_b32_e32 v120, 0xfffffe0, v120
	v_sub_u32_e32 v120, v123, v120
	v_xor_b32_e32 v120, v120, v127
	v_sub_u32_e32 v120, v120, v121
	v_lshlrev_b32_e32 v120, 4, v120
	v_add3_u32 v121, v122, s66, v120
	s_and_b32 s2, s2, 0xffffffc
	v_add_lshl_u32 v112, s2, v224, 4
	s_waitcnt vmcnt(3)
	v_xor_b32_e32 v0, v97, v151
	v_sub_u32_e32 v1, v0, v88
	v_lshl_add_u32 v2, v1, 3, v89
	v_lshl_add_u32 v102, v1, 4, v101
	s_waitcnt vmcnt(2)
	v_xor_b32_e32 v1, v97, v152
	v_sub_u32_e32 v0, v1, v0
	v_lshl_add_u32 v2, v0, 3, v2
	v_lshl_add_u32 v103, v0, 4, v102
	;; [unrolled: 5-line block ×4, first 2 shown]
	v_xor_b32_e32 v0, v97, v155
	v_sub_u32_e32 v1, v0, v1
	v_lshl_add_u32 v2, v1, 3, v2
	v_lshl_add_u32 v106, v1, 4, v105
	v_xor_b32_e32 v1, v97, v156
	v_sub_u32_e32 v0, v1, v0
	v_lshlrev_b32_e32 v3, 3, v0
	v_lshl_add_u32 v107, v0, 4, v106
	v_xor_b32_e32 v0, v97, v157
	v_sub_u32_e32 v0, v0, v1
	v_lshlrev_b32_e32 v0, 4, v0
	v_add_lshl_u32 v1, v3, v2, 1
	v_accvgpr_read_b32 v2, a222
	v_add3_u32 v97, v2, v0, v1
	ds_read_b128 v[64:67], v97
	v_lshlrev_b32_e32 v0, 1, v100
	ds_read_b128 v[88:91], v102
	ds_read_b128 v[92:95], v103
	;; [unrolled: 1-line block ×6, first 2 shown]
	s_waitcnt lgkmcnt(0)
	s_barrier
	ds_read_b128 v[16:19], v0 offset:32768
	v_sub_u32_e32 v0, v4, v99
	v_lshlrev_b32_e32 v0, 3, v0
	v_add3_u32 v5, v100, v13, v0
	v_sub_u32_e32 v4, v8, v4
	v_lshlrev_b32_e32 v6, 1, v5
	v_lshl_add_u32 v4, v4, 3, v29
	ds_read_b128 v[0:3], v6 offset:32768
	v_lshl_add_u32 v6, v4, 1, v6
	v_lshl_add_u32 v10, v7, 1, v6
	ds_read_b128 v[20:23], v6 offset:32768
	v_add3_u32 v8, v4, v5, v7
	ds_read_b128 v[4:7], v10 offset:32768
	v_lshl_add_u32 v10, v9, 1, v10
	v_add3_u32 v8, v9, v8, v12
	v_lshl_add_u32 v9, v12, 1, v10
	ds_read_b128 v[24:27], v10 offset:32768
	ds_read_b128 v[12:15], v9 offset:32768
	v_or_b32_e32 v10, 24, v98
	v_xor_b32_e32 v98, v10, v28
	v_sub_u32_e32 v11, v98, v11
	v_lshl_add_u32 v11, v11, 3, v29
	v_lshl_add_u32 v9, v11, 1, v9
	ds_read_b128 v[28:31], v9 offset:32768
	v_xor_b32_e32 v9, v10, v109
	v_sub_u32_e32 v9, v9, v98
	v_ashrrev_i32_e32 v98, 31, v96
	v_lshrrev_b32_e32 v98, 27, v98
	v_add_u32_e32 v98, v96, v98
	v_and_b32_e32 v98, 0xffffffe0, v98
	v_sub_u32_e32 v98, v96, v98
	v_xor_b32_e32 v98, v98, v127
	v_lshlrev_b32_e32 v99, 8, v96
	v_lshlrev_b32_e32 v9, 4, v9
	v_add_lshl_u32 v8, v11, v8, 1
	v_accvgpr_read_b32 v10, a227
	v_lshl_add_u32 v99, v98, 3, v99
	v_add3_u32 v8, v10, v9, v8
	v_lshlrev_b32_e32 v100, 1, v99
	ds_read_b128 v[8:11], v8 offset:32768
	ds_write_b128 v100, v[60:63]
	v_add_u32_e32 v60, 8, v96
	v_ashrrev_i32_e32 v61, 31, v60
	v_lshrrev_b32_e32 v61, 27, v61
	v_add_u32_e32 v61, v60, v61
	v_and_b32_e32 v61, 0xffffffe0, v61
	v_sub_u32_e32 v60, v60, v61
	v_xor_b32_e32 v60, v60, v127
	v_sub_u32_e32 v61, v60, v98
	v_lshl_add_u32 v62, v61, 3, v99
	v_lshl_add_u32 v61, v61, 4, v100
	ds_write_b128 v61, v[56:59] offset:4096
	v_add_u32_e32 v56, 16, v96
	v_ashrrev_i32_e32 v57, 31, v56
	v_lshrrev_b32_e32 v57, 27, v57
	v_add_u32_e32 v57, v56, v57
	v_and_b32_e32 v57, 0xffffffe0, v57
	v_sub_u32_e32 v56, v56, v57
	v_xor_b32_e32 v56, v56, v127
	v_sub_u32_e32 v57, v56, v60
	v_add_u32_e32 v59, 24, v96
	v_lshlrev_b32_e32 v58, 3, v57
	v_ashrrev_i32_e32 v60, 31, v59
	v_lshlrev_b32_e32 v57, 4, v57
	v_lshrrev_b32_e32 v60, 27, v60
	v_add3_u32 v57, v61, s3, v57
	v_add_u32_e32 v60, v59, v60
	ds_write_b128 v57, v[52:55] offset:4096
	v_add_u32_e32 v52, 32, v96
	v_and_b32_e32 v60, 0xffffffe0, v60
	v_ashrrev_i32_e32 v53, 31, v52
	v_sub_u32_e32 v59, v59, v60
	v_lshrrev_b32_e32 v53, 27, v53
	v_xor_b32_e32 v59, v59, v127
	v_add_u32_e32 v53, v52, v53
	v_sub_u32_e32 v56, v59, v56
	v_and_b32_e32 v53, 0xffffffe0, v53
	v_lshlrev_b32_e32 v60, 3, v56
	v_sub_u32_e32 v52, v52, v53
	v_lshlrev_b32_e32 v56, 4, v56
	v_xor_b32_e32 v52, v52, v127
	v_add_u32_e32 v55, 40, v96
	v_add3_u32 v56, v57, s3, v56
	v_sub_u32_e32 v53, v52, v59
	v_ashrrev_i32_e32 v59, 31, v55
	ds_write_b128 v56, v[48:51] offset:4096
	v_add_u32_e32 v48, 48, v96
	v_lshrrev_b32_e32 v59, 27, v59
	v_ashrrev_i32_e32 v49, 31, v48
	v_add_u32_e32 v59, v55, v59
	v_lshrrev_b32_e32 v49, 27, v49
	v_and_b32_e32 v59, 0xffffffe0, v59
	v_add_u32_e32 v49, v48, v49
	v_sub_u32_e32 v55, v55, v59
	v_and_b32_e32 v49, 0xffffffe0, v49
	v_xor_b32_e32 v55, v55, v127
	v_sub_u32_e32 v48, v48, v49
	v_lshlrev_b32_e32 v51, 4, v53
	v_sub_u32_e32 v52, v55, v52
	v_xor_b32_e32 v48, v48, v127
	v_add3_u32 v51, v56, s3, v51
	v_sub_u32_e32 v49, v48, v55
	ds_write_b128 v51, v[40:43] offset:4096
	v_lshlrev_b32_e32 v40, 4, v52
	v_add3_u32 v40, v51, s3, v40
	v_lshlrev_b32_e32 v41, 4, v49
	ds_write_b128 v40, v[44:47] offset:4096
	v_add3_u32 v40, v40, s3, v41
	ds_write_b128 v40, v[36:39] offset:4096
	v_add_u32_e32 v36, 56, v96
	v_ashrrev_i32_e32 v37, 31, v36
	v_lshrrev_b32_e32 v37, 27, v37
	v_add_u32_e32 v37, v36, v37
	v_and_b32_e32 v37, 0xfffffe0, v37
	v_add3_u32 v58, v62, v58, v60
	v_lshlrev_b32_e32 v54, 3, v53
	v_lshlrev_b32_e32 v59, 3, v52
	v_sub_u32_e32 v36, v36, v37
	v_add3_u32 v54, v58, v54, v59
	v_lshlrev_b32_e32 v50, 3, v49
	v_xor_b32_e32 v36, v36, v127
	v_add_lshl_u32 v50, v54, v50, 1
	v_sub_u32_e32 v36, v36, v48
	s_add_i32 s3, s4, s44
	v_accvgpr_read_b32 v96, a228
	v_lshl_add_u32 v36, v36, 4, v50
	v_add_u32_e32 v98, s3, v96
	ds_write_b128 v36, v[32:35] offset:28672
	s_waitcnt lgkmcnt(0)
	s_barrier
	ds_read_b128 v[60:63], v101
	ds_read_b128 v[56:59], v102
	ds_read_b128 v[52:55], v103
	ds_read_b128 v[48:51], v104
	ds_read_b128 v[44:47], v105
	ds_read_b128 v[40:43], v106
	ds_read_b128 v[36:39], v107
	ds_read_b128 v[32:35], v97
	v_mad_u64_u32 v[96:97], s[8:9], v98, s37, v[108:109]
	v_and_or_b32 v97, s4, -16, v124
	s_lshr_b32 s8, s5, 27
	s_lshr_b32 s5, s5, 29
	v_add_u32_e32 v99, s8, v97
	v_mad_u64_u32 v[100:101], s[8:9], v98, s40, v[108:109]
	v_add_u32_e32 v98, s5, v97
	v_and_b32_e32 v99, 0xffffffe0, v99
	v_and_b32_e32 v98, -8, v98
	v_sub_u32_e32 v116, v97, v99
	v_sub_u32_e32 v148, v97, v98
	v_xor_b32_e32 v113, v116, v224
	v_xor_b32_e32 v147, v148, v224
	v_lshlrev_b32_e32 v99, 3, v113
	v_lshlrev_b32_e32 v98, 3, v147
	v_lshl_add_u32 v115, v97, 8, v99
	v_lshl_add_u32 v173, v97, 6, v98
	v_lshlrev_b32_e32 v97, 1, v96
	v_add_lshl_u32 v96, v96, s37, 1
	buffer_load_dwordx4 v[104:107], v97, s[72:75], 0 offen
	buffer_load_dwordx4 v[108:111], v96, s[72:75], 0 offen
	v_or_b32_e32 v99, s57, v124
	v_lshlrev_b32_e32 v114, 2, v99
	v_lshlrev_b32_e32 v96, 1, v100
	v_add_lshl_u32 v100, v100, s40, 1
	buffer_load_dword v117, v114, s[20:23], 0 offen
	s_nop 0
	buffer_load_dwordx4 v[96:99], v96, s[76:79], 0 offen
	s_nop 0
	buffer_load_dwordx4 v[100:103], v100, s[76:79], 0 offen
	s_nop 0
	buffer_load_dword v114, v114, s[84:87], 0 offen
	s_waitcnt lgkmcnt(0)
	s_barrier
	s_waitcnt vmcnt(5)
	ds_write_b128 v122, v[104:107] offset:24576
	s_waitcnt vmcnt(4)
	ds_write_b128 v121, v[108:111] offset:512
	v_perm_b32 v121, v104, v108, s30
	v_perm_b32 v104, v104, v108, s31
	;; [unrolled: 1-line block ×8, first 2 shown]
	v_lshrrev_b32_e32 v111, 30, v119
	v_add_u32_e32 v111, v118, v111
	v_ashrrev_i32_e32 v119, 2, v111
	v_and_b32_e32 v111, 0xfc, v111
	v_sub_u32_e32 v111, v118, v111
	v_mov_b32_e32 v118, 1
	v_bfe_i32 v123, v119, 28, 1
	v_ashrrev_i16_sdwa v111, v118, sext(v111) dst_sel:DWORD dst_unused:UNUSED_PAD src0_sel:DWORD src1_sel:BYTE_0
	v_lshlrev_b32_e32 v118, 3, v119
	v_lshrrev_b32_e32 v123, 28, v123
	v_add_u32_e32 v149, v118, v123
	v_and_b32_e32 v149, -16, v149
	v_sub_u32_e32 v149, v118, v149
	v_bfe_i32 v111, v111, 0, 16
	v_xor_b32_e32 v149, v149, v126
	v_lshl_or_b32 v119, v119, 9, v158
	v_lshlrev_b32_e32 v150, 2, v149
	v_lshl_add_u32 v111, v111, 11, v119
	v_add_lshl_u32 v111, v111, v150, 1
	v_or_b32_e32 v119, 1, v118
	ds_write_b32 v111, v121
	v_add_u32_e32 v121, v119, v123
	v_and_b32_e32 v121, -16, v121
	v_sub_u32_e32 v119, v119, v121
	v_xor_b32_e32 v119, v119, v126
	v_sub_u32_e32 v121, v119, v149
	v_lshlrev_b32_e32 v121, 3, v121
	v_add_u32_e32 v149, v111, v121
	ds_write_b32 v149, v104 offset:128
	v_or_b32_e32 v104, 2, v118
	v_add_u32_e32 v150, v104, v123
	v_and_b32_e32 v150, -16, v150
	v_sub_u32_e32 v104, v104, v150
	v_xor_b32_e32 v104, v104, v126
	v_sub_u32_e32 v119, v104, v119
	v_lshlrev_b32_e32 v119, 3, v119
	v_add3_u32 v149, v149, s45, v119
	ds_write_b32 v149, v108 offset:128
	v_or_b32_e32 v108, 3, v118
	v_add_u32_e32 v150, v108, v123
	v_and_b32_e32 v150, -16, v150
	v_sub_u32_e32 v108, v108, v150
	v_xor_b32_e32 v108, v108, v126
	v_sub_u32_e32 v104, v108, v104
	v_lshlrev_b32_e32 v104, 3, v104
	v_add3_u32 v149, v149, s45, v104
	ds_write_b32 v149, v105 offset:128
	v_or_b32_e32 v105, 4, v118
	v_add_u32_e32 v150, v105, v123
	v_and_b32_e32 v150, -16, v150
	v_sub_u32_e32 v105, v105, v150
	v_xor_b32_e32 v105, v105, v126
	v_sub_u32_e32 v108, v105, v108
	v_lshlrev_b32_e32 v108, 3, v108
	v_add3_u32 v149, v149, s45, v108
	ds_write_b32 v149, v109 offset:128
	v_or_b32_e32 v109, 5, v118
	v_add_u32_e32 v150, v109, v123
	v_and_b32_e32 v150, -16, v150
	v_sub_u32_e32 v109, v109, v150
	v_xor_b32_e32 v109, v109, v126
	v_sub_u32_e32 v105, v109, v105
	v_lshlrev_b32_e32 v105, 3, v105
	v_add3_u32 v149, v149, s45, v105
	ds_write_b32 v149, v106 offset:128
	v_or_b32_e32 v106, 6, v118
	v_add_u32_e32 v150, v106, v123
	v_and_b32_e32 v150, -16, v150
	v_sub_u32_e32 v106, v106, v150
	v_xor_b32_e32 v106, v106, v126
	v_sub_u32_e32 v109, v106, v109
	v_lshlrev_b32_e32 v109, 3, v109
	v_add3_u32 v149, v149, s45, v109
	ds_write_b32 v149, v110 offset:128
	v_or_b32_e32 v110, 7, v118
	v_add_u32_e32 v118, v110, v123
	v_and_b32_e32 v118, 0x1ffffff0, v118
	v_sub_u32_e32 v110, v110, v118
	v_xor_b32_e32 v110, v110, v126
	v_sub_u32_e32 v106, v110, v106
	v_lshlrev_b32_e32 v106, 3, v106
	v_add3_u32 v110, v149, s45, v106
	ds_write_b32 v110, v107 offset:128
	s_waitcnt vmcnt(3)
	ds_write_b32 v125, v117 offset:32768
	s_waitcnt vmcnt(2)
	ds_write_b128 v122, v[96:99] offset:8192
	v_add3_u32 v107, v122, s70, v120
	s_waitcnt vmcnt(1)
	ds_write_b128 v107, v[100:103] offset:512
	v_perm_b32 v107, v96, v100, s30
	v_perm_b32 v96, v96, v100, s31
	;; [unrolled: 1-line block ×8, first 2 shown]
	v_add3_u32 v103, v111, s15, v121
	ds_write_b32 v111, v107 offset:16384
	ds_write_b32 v103, v96 offset:128
	v_add3_u32 v96, v103, s45, v119
	ds_write_b32 v96, v100 offset:128
	v_add3_u32 v96, v96, s45, v104
	ds_write_b32 v96, v97 offset:128
	v_add3_u32 v96, v96, s45, v108
	ds_write_b32 v96, v101 offset:128
	v_add3_u32 v96, v96, s45, v105
	ds_write_b32 v96, v98 offset:128
	v_add3_u32 v96, v96, s45, v109
	ds_write_b32 v96, v102 offset:128
	v_add3_u32 v96, v96, s45, v106
	ds_write_b32 v96, v99 offset:128
	s_waitcnt vmcnt(0)
	ds_write_b32 v125, v114 offset:32832
	v_xor_b32_e32 v96, v116, v151
	v_sub_u32_e32 v97, v96, v113
	v_lshlrev_b32_e32 v97, 3, v97
	v_lshlrev_b32_e32 v114, 1, v115
	v_add_lshl_u32 v115, v115, v97, 1
	v_xor_b32_e32 v97, v116, v152
	v_sub_u32_e32 v96, v97, v96
	v_lshl_add_u32 v149, v96, 4, v115
	v_xor_b32_e32 v96, v116, v153
	v_sub_u32_e32 v97, v96, v97
	v_lshl_add_u32 v150, v97, 4, v149
	;; [unrolled: 3-line block ×5, first 2 shown]
	v_xor_b32_e32 v96, v116, v157
	v_sub_u32_e32 v96, v96, v97
	v_accvgpr_read_b32 v97, a231
	v_lshl_add_u32 v96, v96, 3, v97
	v_lshl_add_u32 v101, v96, 1, v100
	s_waitcnt lgkmcnt(0)
	s_barrier
	ds_read_b128 a[176:179], v114 offset:24576
	ds_read_b128 a[164:167], v113 offset:24576
	;; [unrolled: 1-line block ×18, first 2 shown]
	; sched_barrier mask(0x00000000)
	v_accvgpr_read_b32 v96, a250
	v_xor_b32_e32 v96, v148, v96
	s_cmp_lg_u32 vcc_hi, 1
	v_add_u32_e32 v102, s7, v172
	v_sub_u32_e32 v98, v96, v147
	s_cbranch_scc0 .LBB1_18
; %bb.14:                               ;   in Loop: Header=BB1_4 Depth=1
	buffer_load_dword v97, off, s[96:99], 0 offset:32 ; 4-byte Folded Reload
	v_sub_u32_e32 v96, v147, v96
	v_accvgpr_write_b32 a218, v102
	s_ashr_i32 s2, s7, 31
	s_lshr_b32 s2, s2, 28
	s_add_i32 s2, s7, s2
	s_ashr_i32 s63, s2, 4
	v_readlane_b32 s2, v254, 58
	v_lshlrev_b32_e32 v110, 4, v127
	s_mov_b32 s14, s91
	s_mov_b32 s13, s51
	;; [unrolled: 1-line block ×3, first 2 shown]
	v_add_u32_e32 v148, s7, v172
	s_add_i32 s61, s7, 64
	s_mov_b32 s59, s83
	s_min_i32 s60, s83, s34
	s_mov_b32 s83, s75
	s_add_i32 s64, s25, 0xb54cda56
	s_add_u32 s65, s25, 0x9e3779b9
	s_add_u32 s67, s46, 0xbb67ae85
	;; [unrolled: 1-line block ×10, first 2 shown]
	s_add_i32 s24, s46, 0x646e171e
	v_accvgpr_write_b32 a216, v98
	s_add_i32 s47, vcc_hi, -1
	s_add_i32 s51, s57, -16
	s_lshr_b32 s8, vcc_lo, 4
	v_accvgpr_write_b32 a87, 0
	v_accvgpr_write_b32 a86, 0
	;; [unrolled: 1-line block ×47, first 2 shown]
	s_waitcnt vmcnt(0)
	v_lshl_add_u32 v102, v96, 3, v97
	buffer_load_dword v96, off, s[96:99], 0 offset:28 ; 4-byte Folded Reload
	buffer_load_dword v97, off, s[96:99], 0 offset:40 ; 4-byte Folded Reload
	v_accvgpr_write_b32 a92, 0
	v_accvgpr_write_b32 a83, 0
	;; [unrolled: 1-line block ×78, first 2 shown]
	s_waitcnt vmcnt(1)
	v_lshl_add_u32 v103, v98, 3, v96
	buffer_load_dword v96, off, s[96:99], 0 offset:36 ; 4-byte Folded Reload
	s_waitcnt vmcnt(1)
	v_add_u32_e32 v97, s3, v97
	v_mul_lo_u32 v105, s2, v97
	v_accvgpr_write_b32 a62, 0
	v_accvgpr_write_b32 a61, 0
	;; [unrolled: 1-line block ×3, first 2 shown]
	v_mov_b32_e32 v109, v110
	v_accvgpr_write_b32 a217, v173
	v_mov_b32_e32 v147, v173
	s_waitcnt lgkmcnt(0)
	v_mov_b32_e32 v99, v171
	v_mov_b32_e32 v98, v170
	;; [unrolled: 1-line block ×6, first 2 shown]
	v_accvgpr_read_b32 v172, a184
	v_accvgpr_read_b32 v173, a185
	;; [unrolled: 1-line block ×28, first 2 shown]
	v_mov_b32_e32 v184, v156
	v_mov_b32_e32 v185, v157
	;; [unrolled: 1-line block ×4, first 2 shown]
	v_accvgpr_read_b32 v236, a176
	v_accvgpr_read_b32 v237, a177
	;; [unrolled: 1-line block ×24, first 2 shown]
	v_mov_b32_e32 v212, v152
	v_mov_b32_e32 v213, v153
	;; [unrolled: 1-line block ×8, first 2 shown]
	s_waitcnt vmcnt(0)
	v_add_u32_e32 v96, s3, v96
	v_mul_lo_u32 v104, s2, v96
	v_readlane_b32 s2, v254, 60
	v_mul_lo_u32 v106, s2, v96
	v_or_b32_e32 v96, 16, v124
	v_mul_lo_u32 v107, s2, v97
	v_add_lshl_u32 v108, v96, s57, 2
	v_mov_b32_e32 v97, v169
	v_mov_b32_e32 v96, v168
	s_branch .LBB1_16
.LBB1_15:                               ;   in Loop: Header=BB1_16 Depth=2
	v_mul_f32_e32 v214, 0x3fb8aa3b, v204
	v_cmp_neq_f32_e32 vcc, s48, v204
	v_readfirstlane_b32 s2, v241
	v_cndmask_b32_e32 v204, 0, v214, vcc
	s_ashr_i32 s3, s2, 31
	v_sub_f32_e32 v204, v208, v204
	s_lshr_b32 s3, s3, 30
	v_exp_f32_e32 v214, v204
	v_mul_f32_e32 v204, 0x3fb8aa3b, v205
	v_cmp_neq_f32_e32 vcc, s48, v205
	s_add_i32 s3, s2, s3
	v_cndmask_b32_e32 v204, 0, v204, vcc
	s_ashr_i32 s3, s3, 2
	v_sub_f32_e32 v204, v209, v204
	s_lshl_b32 s4, s3, 2
	v_exp_f32_e32 v215, v204
	v_mul_f32_e32 v204, 0x3fb8aa3b, v206
	v_cmp_neq_f32_e32 vcc, s48, v206
	s_sub_i32 s4, s2, s4
	s_add_i32 s3, s8, s3
	v_cndmask_b32_e32 v204, 0, v204, vcc
	s_add_i32 s4, s4, s63
	s_lshr_b32 s5, s3, 31
	v_sub_f32_e32 v204, v210, v204
	s_add_i32 s5, s3, s5
	s_lshr_b32 s10, s4, 31
	v_exp_f32_e32 v216, v204
	v_mul_f32_e32 v204, 0x3fb8aa3b, v207
	v_cmp_neq_f32_e32 vcc, s48, v207
	s_ashr_i32 s9, s5, 1
	s_add_i32 s10, s4, s10
	s_and_b32 s5, s5, 0x7ffffffe
	v_accvgpr_read_b32 v116, a232
	v_cndmask_b32_e32 v204, 0, v204, vcc
	s_sub_i32 s3, s3, s5
	s_and_b32 s5, s10, 0xffffffe
	ds_read_b32 v213, v116 offset:4096
	v_sub_f32_e32 v204, v211, v204
	s_sub_i32 s4, s4, s5
	v_accvgpr_read_b32 v116, a249
	v_exp_f32_e32 v217, v204
	v_lshl_add_u32 v204, s4, 4, v116
	v_ashrrev_i32_e32 v205, 31, v204
	v_add_co_u32_e32 v204, vcc, s55, v204
	v_mov_b32_e32 v206, s33
	v_addc_co_u32_e32 v206, vcc, v206, v205, vcc
	v_mad_u64_u32 v[204:205], s[4:5], v204, s49, 0
	s_mul_hi_u32 s4, s9, 0xcd9e8d57
	s_ashr_i32 s11, s10, 1
	s_xor_b32 s4, s25, s4
	v_xor_b32_e32 v206, s4, v206
	s_xor_b32 s4, s46, s11
	v_accvgpr_read_b32 v116, a211
	v_xor_b32_e32 v205, s4, v205
	v_mad_u64_u32 v[206:207], s[4:5], v206, s49, 0
	v_lshl_or_b32 v218, s3, 1, v116
	s_mul_i32 s3, s9, 0xcd9e8d57
	v_xor_b32_e32 v207, s67, v207
	v_mad_u64_u32 v[208:209], s[4:5], v205, s50, 0
	s_xor_b32 s3, s3, s65
	v_xor_b32_e32 v207, v207, v204
	v_xor_b32_e32 v205, s3, v209
	v_mad_u64_u32 v[210:211], s[4:5], v207, s50, 0
	v_mad_u64_u32 v[204:205], s[4:5], v205, s49, 0
	v_xor_b32_e32 v207, s91, v211
	v_xor_b32_e32 v207, v207, v208
	v_xor_b32_e32 v205, s54, v205
	v_xor_b32_e32 v205, v205, v206
	v_mad_u64_u32 v[206:207], s[4:5], v207, s49, 0
	v_mad_u64_u32 v[208:209], s[4:5], v205, s50, 0
	v_xor_b32_e32 v207, s29, v207
	v_xor_b32_e32 v205, s56, v209
	;; [unrolled: 6-line block ×5, first 2 shown]
	v_xor_b32_e32 v205, v205, v206
	v_cmp_eq_u32_e32 vcc, 1, v218
	v_xor_b32_e32 v205, s24, v205
	v_cndmask_b32_e32 v206, v207, v210, vcc
	v_cmp_eq_u32_e32 vcc, 2, v218
	v_cndmask_b32_e32 v205, v206, v205, vcc
	v_cmp_eq_u32_e32 vcc, 3, v218
	v_cndmask_b32_e32 v204, v205, v204, vcc
	v_and_b32_e32 v205, 0xff, v204
	v_lshrrev_b32_e32 v206, 8, v204
	v_and_b32_e32 v206, 0xff, v206
	s_movk_i32 s3, 0xff
	v_cmp_lt_u16_sdwa s[4:5], s93, v205 src0_sel:BYTE_0 src1_sel:DWORD
	v_and_b32_sdwa v207, v204, s3 dst_sel:DWORD dst_unused:UNUSED_PAD src0_sel:WORD_1 src1_sel:DWORD
	v_cndmask_b32_e64 v224, v214, -v214, s[4:5]
	v_cmp_lt_u16_sdwa s[4:5], s93, v206 src0_sel:BYTE_0 src1_sel:DWORD
	ds_read_b32 v212, v128 offset:16384
	v_lshrrev_b32_e32 v204, 24, v204
	v_cndmask_b32_e64 v222, v215, -v215, s[4:5]
	v_cmp_lt_u16_sdwa s[4:5], s93, v207 src0_sel:BYTE_0 src1_sel:DWORD
	v_cndmask_b32_e64 v225, v216, -v216, s[4:5]
	v_cmp_lt_u16_sdwa s[4:5], s93, v204 src0_sel:BYTE_0 src1_sel:DWORD
	v_cndmask_b32_e64 v223, v217, -v217, s[4:5]
	v_max_f32_e32 v204, 0, v224
	v_max_f32_e32 v205, 0, v222
	;; [unrolled: 1-line block ×4, first 2 shown]
	v_cvt_f16_f32_e32 v204, v204
	v_cvt_f16_f32_e32 v206, v206
	;; [unrolled: 1-line block ×4, first 2 shown]
	v_accvgpr_read_b32 v116, a233
	v_add_u32_e32 v208, v106, v109
	v_pack_b32_f16 v243, v206, v207
	v_pack_b32_f16 v242, v204, v205
	v_add_u32_e32 v206, v105, v110
	buffer_load_dwordx4 v[226:229], v206, s[72:75], 0 offen
	s_waitcnt lgkmcnt(0)
	v_mfma_f32_16x16x16f16 a[20:23], v[212:213], v[242:243], a[20:23]
	ds_read_b32 v213, v116 offset:4096
	v_accvgpr_read_b32 v116, a234
	ds_read_b32 v212, v130 offset:16384
	ds_read_b32 v204, v129 offset:16384
	;; [unrolled: 1-line block ×3, first 2 shown]
	v_accvgpr_read_b32 v116, a235
	v_add_u32_e32 v206, v104, v110
	s_waitcnt lgkmcnt(0)
	v_mfma_f32_16x16x16f16 a[12:15], v[204:205], v[242:243], a[12:15]
	ds_read_b32 v215, v116 offset:4096
	v_accvgpr_read_b32 v116, a236
	ds_read_b32 v214, v131 offset:16384
	ds_read_b32 v204, v132 offset:16384
	;; [unrolled: 1-line block ×3, first 2 shown]
	buffer_load_dwordx4 v[230:233], v206, s[72:75], 0 offen
	v_add_u32_e32 v206, v107, v109
	v_accvgpr_read_b32 v116, a237
	s_waitcnt lgkmcnt(0)
	v_mfma_f32_16x16x16f16 a[24:27], v[204:205], v[242:243], a[24:27]
	ds_read_b32 v217, v116 offset:4096
	v_accvgpr_read_b32 v116, a238
	buffer_load_dwordx4 v[204:207], v206, s[76:79], 0 offen
	ds_read_b32 v216, v134 offset:16384
	buffer_load_dwordx4 v[208:211], v208, s[76:79], 0 offen
	ds_read_b32 v219, v116 offset:4096
	buffer_load_dword v240, v108, s[20:23], 0 offen
	buffer_load_dword v116, v108, s[84:87], 0 offen
	ds_read_b32 v218, v133 offset:16384
	v_accvgpr_read_b32 v117, a239
	s_waitcnt lgkmcnt(0)
	v_mfma_f32_16x16x16f16 a[28:31], v[218:219], v[242:243], a[28:31]
	ds_read_b32 a135, v117 offset:4096
	v_accvgpr_read_b32 v117, a240
	ds_read_b32 a134, v135 offset:16384
	ds_read_b32 v218, v136 offset:16384
	ds_read_b32 v219, v117 offset:4096
	v_accvgpr_read_b32 v117, a241
	ds_read2st64_b32 v[234:235], v128 offset1:16
	s_waitcnt lgkmcnt(1)
	v_mfma_f32_16x16x16f16 a[16:19], v[218:219], v[242:243], a[16:19]
	ds_read_b32 a137, v117 offset:4096
	v_accvgpr_read_b32 v117, a242
	ds_read_b32 a136, v138 offset:16384
	ds_read_b32 v218, v137 offset:16384
	ds_read_b32 v219, v117 offset:4096
	v_accvgpr_read_b32 v117, a243
	ds_read2st64_b32 v[236:237], v129 offset1:16
	s_waitcnt lgkmcnt(1)
	v_mfma_f32_16x16x16f16 a[8:11], v[218:219], v[242:243], a[8:11]
	ds_read_b32 a141, v117 offset:4096
	v_accvgpr_read_b32 v117, a244
	ds_read_b32 a140, v139 offset:16384
	ds_read_b32 v218, v140 offset:16384
	ds_read_b32 v219, v117 offset:4096
	v_accvgpr_read_b32 v117, a245
	ds_read2st64_b32 v[238:239], v132 offset1:16
	s_waitcnt lgkmcnt(1)
	v_mfma_f32_16x16x16f16 a[4:7], v[218:219], v[242:243], a[4:7]
	ds_read_b32 v245, v117 offset:4096
	v_accvgpr_read_b32 v117, a246
	ds_read_b32 v244, v142 offset:16384
	ds_read_b32 v218, v141 offset:16384
	ds_read_b32 v219, v117 offset:4096
	v_accvgpr_read_b32 v117, a247
	ds_read2st64_b32 v[220:221], v141 offset1:16
	s_waitcnt lgkmcnt(1)
	v_mfma_f32_16x16x16f16 a[0:3], v[218:219], v[242:243], a[0:3]
	ds_read2st64_b32 v[218:219], v140 offset1:16
	ds_read_b32 v248, v143 offset:16384
	ds_read_b32 v249, v117 offset:4096
	ds_read2st64_b32 v[250:251], v130 offset1:16
	ds_read2st64_b32 v[252:253], v131 offset1:16
	;; [unrolled: 1-line block ×11, first 2 shown]
	; sched_group_barrier mask(0x00000008) size(1) SyncID(0)
	; sched_group_barrier mask(0x00000100) size(2) SyncID(0)
	;; [unrolled: 1-line block ×32, first 2 shown]
	; sched_barrier mask(0x00000000)
	v_mfma_f32_16x16x16f16 a[188:191], v[172:173], v[60:61], 0
	s_lshl_b32 s3, s2, 2
	v_accvgpr_read_b32 v120, a229
	v_add_u32_e32 v173, s3, v120
	s_waitcnt lgkmcnt(0)
	s_barrier
	v_mov_b32_e32 v120, 1
	; sched_group_barrier mask(0x00000008) size(1) SyncID(0)
	v_mfma_f32_16x16x16f16 a[188:191], v[174:175], v[62:63], a[188:191]
	v_ashrrev_i32_e32 v174, 31, v173
	v_lshrrev_b32_e32 v175, 27, v174
	v_lshrrev_b32_e32 v174, 30, v174
	v_add_u32_e32 v174, v173, v174
	v_mfma_f32_16x16x16f16 a[188:191], v[176:177], v[56:57], a[188:191]
	v_add_u32_e32 v176, v173, v175
	v_and_b32_e32 v176, 0xffffffe0, v176
	v_sub_u32_e32 v176, v173, v176
	v_xor_b32_e32 v176, v176, v127
	v_lshlrev_b32_e32 v177, 3, v176
	v_mfma_f32_16x16x16f16 a[188:191], v[178:179], v[58:59], a[188:191]
	v_lshlrev_b32_e32 v178, 8, v173
	v_add_lshl_u32 v177, v177, v178, 1
	s_waitcnt vmcnt(5)
	ds_write_b128 v177, v[226:229] offset:24576
	v_or_b32_e32 v178, 1, v173
	v_add_u32_e32 v175, v178, v175
	v_and_b32_e32 v175, 0xfffffe0, v175
	v_sub_u32_e32 v175, v178, v175
	v_mfma_f32_16x16x16f16 a[188:191], v[180:181], v[52:53], a[188:191]
	v_xor_b32_e32 v175, v175, v127
	v_sub_u32_e32 v175, v175, v176
	v_lshlrev_b32_e32 v175, 4, v175
	v_add3_u32 v176, v177, s66, v175
	s_waitcnt vmcnt(4)
	ds_write_b128 v176, v[230:233] offset:512
	v_perm_b32 v176, v226, v230, s30
	v_perm_b32 v178, v226, v230, s31
	v_mfma_f32_16x16x16f16 a[188:191], v[182:183], v[54:55], a[188:191]
	v_perm_b32 v179, v227, v231, s30
	v_perm_b32 v180, v227, v231, s31
	;; [unrolled: 1-line block ×5, first 2 shown]
	v_add3_u32 v175, v177, s70, v175
	v_mfma_f32_16x16x16f16 a[188:191], v[188:189], v[48:49], a[188:191]
	v_mfma_f32_16x16x16f16 a[188:191], v[190:191], v[50:51], a[188:191]
	;; [unrolled: 1-line block ×9, first 2 shown]
	v_ashrrev_i32_e32 v185, 2, v174
	v_and_b32_e32 v174, 0xfc, v174
	v_sub_u32_e32 v173, v173, v174
	v_lshlrev_b32_e32 v174, 3, v185
	v_ashrrev_i16_sdwa v173, v120, sext(v173) dst_sel:DWORD dst_unused:UNUSED_PAD src0_sel:DWORD src1_sel:BYTE_0
	v_accvgpr_read_b32 v120, a230
	v_bfe_i32 v173, v173, 0, 16
	v_mfma_f32_16x16x16f16 a[188:191], v[186:187], v[34:35], a[188:191]
	v_bfe_i32 v186, v185, 28, 1
	v_lshrrev_b32_e32 v186, 28, v186
	v_add_u32_e32 v187, v174, v186
	v_and_b32_e32 v187, -16, v187
	v_sub_u32_e32 v187, v174, v187
	v_xor_b32_e32 v187, v187, v126
	v_lshl_or_b32 v185, v185, 9, v120
	v_lshlrev_b32_e32 v188, 2, v187
	v_lshl_add_u32 v173, v173, 11, v185
	v_add_lshl_u32 v173, v173, v188, 1
	ds_write_b32 v173, v176
	v_or_b32_e32 v176, 1, v174
	v_add_u32_e32 v185, v176, v186
	v_and_b32_e32 v185, -16, v185
	v_sub_u32_e32 v176, v176, v185
	v_xor_b32_e32 v176, v176, v126
	v_sub_u32_e32 v185, v176, v187
	v_lshlrev_b32_e32 v185, 3, v185
	v_add_u32_e32 v187, v173, v185
	ds_write_b32 v187, v178 offset:128
	v_or_b32_e32 v178, 2, v174
	v_add_u32_e32 v188, v178, v186
	v_and_b32_e32 v188, -16, v188
	v_sub_u32_e32 v178, v178, v188
	v_xor_b32_e32 v178, v178, v126
	v_sub_u32_e32 v176, v178, v176
	v_lshlrev_b32_e32 v176, 3, v176
	v_add3_u32 v187, v187, s45, v176
	ds_write_b32 v187, v179 offset:128
	v_or_b32_e32 v179, 3, v174
	v_add_u32_e32 v188, v179, v186
	v_and_b32_e32 v188, -16, v188
	v_sub_u32_e32 v179, v179, v188
	v_xor_b32_e32 v179, v179, v126
	v_sub_u32_e32 v178, v179, v178
	v_lshlrev_b32_e32 v178, 3, v178
	v_add3_u32 v187, v187, s45, v178
	;; [unrolled: 9-line block ×5, first 2 shown]
	v_or_b32_e32 v174, 7, v174
	ds_write_b32 v187, v183 offset:128
	v_add_u32_e32 v183, v174, v186
	v_and_b32_e32 v183, 0x1ffffff0, v183
	v_sub_u32_e32 v174, v174, v183
	v_xor_b32_e32 v174, v174, v126
	v_sub_u32_e32 v174, v174, v182
	v_lshlrev_b32_e32 v174, 3, v174
	v_perm_b32 v184, v229, v233, s31
	v_add3_u32 v182, v187, s45, v174
	ds_write_b32 v182, v184 offset:128
	s_waitcnt vmcnt(1)
	ds_write_b32 v125, v240 offset:32768
	ds_write_b128 v177, v[204:207] offset:8192
	ds_write_b128 v175, v[208:211] offset:512
	v_perm_b32 v175, v204, v208, s30
	v_perm_b32 v177, v204, v208, s31
	ds_write_b32 v173, v175 offset:16384
	v_add3_u32 v173, v173, s15, v185
	v_perm_b32 v182, v205, v209, s30
	ds_write_b32 v173, v177 offset:128
	v_add3_u32 v173, v173, s45, v176
	;; [unrolled: 3-line block ×6, first 2 shown]
	v_accvgpr_read_b32 v172, a191
	v_perm_b32 v188, v207, v211, s31
	ds_write_b32 v173, v187 offset:128
	v_add3_u32 v173, v173, s45, v174
	v_accvgpr_read_b32 v117, a188
	v_accvgpr_read_b32 v118, a189
	v_accvgpr_read_b32 v119, a190
	ds_write_b32 v173, v188 offset:128
	s_waitcnt vmcnt(0)
	ds_write_b32 v125, v116 offset:32832
	; sched_group_barrier mask(0x00000200) size(1) SyncID(0)
	; sched_group_barrier mask(0x00000008) size(1) SyncID(0)
	;; [unrolled: 1-line block ×31, first 2 shown]
	; sched_barrier mask(0x00000000)
	v_cmp_nle_f32_e32 vcc, 0, v224
	v_sub_f32_e32 v116, v117, v96
	v_cndmask_b32_e32 v96, v116, v96, vcc
	v_cmp_nle_f32_e32 vcc, 0, v222
	v_sub_f32_e32 v116, v118, v97
	v_cndmask_b32_e32 v97, v116, v97, vcc
	v_cmp_nle_f32_e32 vcc, 0, v225
	v_sub_f32_e32 v116, v119, v98
	v_fma_mixlo_f16 v96, v224, v96, 0
	s_lshl_b32 s2, s2, 4
	v_cndmask_b32_e32 v98, v116, v98, vcc
	v_cmp_nle_f32_e32 vcc, 0, v223
	v_sub_f32_e32 v116, v172, v99
	v_mov_b32_e32 v172, v96
	v_and_or_b32 v240, s2, 48, v124
	s_and_b32 s2, s3, -16
	v_cndmask_b32_e32 v99, v116, v99, vcc
	v_fma_mixlo_f16 v116, v222, v97, 0
	v_fma_mixhi_f16 v172, v222, v97, 0
	v_add_u32_e32 v97, s2, v144
	v_ashrrev_i32_e32 v118, 31, v97
	v_lshrrev_b32_e32 v118, 29, v118
	v_fma_mixlo_f16 v98, v225, v98, 0
	v_add_u32_e32 v119, v97, v118
	v_mov_b32_e32 v173, v98
	v_and_b32_e32 v119, -8, v119
	v_fma_mixlo_f16 v117, v223, v99, 0
	v_fma_mixhi_f16 v173, v223, v99, 0
	v_lshrrev_b32_e32 v99, 3, v240
	v_sub_u32_e32 v119, v97, v119
	v_accvgpr_read_b32 v120, a210
	v_xor_b32_e32 v119, v119, v99
	v_lshl_or_b32 v174, v97, 6, v120
	v_lshl_add_u32 v174, v119, 3, v174
	v_lshlrev_b32_e32 v175, 1, v174
	v_mfma_f32_16x16x16f16 a[84:87], v[234:235], v[172:173], a[84:87]
	ds_write_b16 v175, v96 offset:32896
	v_or_b32_e32 v96, 1, v97
	v_add_u32_e32 v176, v96, v118
	v_and_b32_e32 v176, -8, v176
	v_sub_u32_e32 v96, v96, v176
	v_xor_b32_e32 v96, v96, v99
	v_sub_u32_e32 v119, v96, v119
	v_lshlrev_b32_e32 v176, 4, v119
	s_mov_b32 s3, 0x8080
	v_add3_u32 v175, v175, s3, v176
	v_mfma_f32_16x16x16f16 a[96:99], v[236:237], v[172:173], a[96:99]
	ds_write_b16 v175, v116 offset:128
	v_or_b32_e32 v116, 2, v97
	v_add_u32_e32 v176, v116, v118
	v_and_b32_e32 v176, -8, v176
	v_sub_u32_e32 v116, v116, v176
	v_xor_b32_e32 v116, v116, v99
	v_sub_u32_e32 v96, v116, v96
	v_lshlrev_b32_e32 v176, 4, v96
	v_add3_u32 v175, v175, s45, v176
	v_mfma_f32_16x16x16f16 a[104:107], v[238:239], v[172:173], a[104:107]
	ds_write_b16 v175, v98 offset:128
	v_lshl_add_u32 v98, v119, 3, v174
	v_lshlrev_b32_e32 v96, 3, v96
	v_or_b32_e32 v97, 3, v97
	v_add_lshl_u32 v96, v98, v96, 1
	v_add_u32_e32 v98, v97, v118
	v_and_b32_e32 v98, 0xffffff8, v98
	v_sub_u32_e32 v97, v97, v98
	v_xor_b32_e32 v97, v97, v99
	v_sub_u32_e32 v97, v97, v116
	v_lshl_add_u32 v96, v97, 4, v96
	v_lshlrev_b32_e32 v116, 1, v147
	v_mfma_f32_16x16x16f16 a[32:35], a[192:193], v[172:173], a[32:35]
	ds_write_b16 v96, v117 offset:33280
	s_waitcnt lgkmcnt(0)
	s_barrier
	; sched_group_barrier mask(0x00000008) size(1) SyncID(0)
	; sched_group_barrier mask(0x00000200) size(1) SyncID(0)
	;; [unrolled: 1-line block ×8, first 2 shown]
	v_mfma_f32_16x16x16f16 a[44:47], a[194:195], v[172:173], a[44:47]
	ds_read_b128 v[96:99], v116 offset:32896
	; sched_group_barrier mask(0x00000008) size(1) SyncID(0)
	; sched_group_barrier mask(0x00000100) size(1) SyncID(0)
	v_mfma_f32_16x16x16f16 a[36:39], a[196:197], v[172:173], a[36:39]
	ds_read_b128 v[236:239], v114 offset:24576
	; sched_group_barrier mask(0x00000008) size(1) SyncID(0)
	; sched_group_barrier mask(0x00000100) size(1) SyncID(0)
	;; [unrolled: 4-line block ×10, first 2 shown]
	v_mfma_f32_16x16x16f16 a[68:71], v[244:245], v[242:243], a[68:71]
	; sched_group_barrier mask(0x00000008) size(1) SyncID(0)
	; sched_group_barrier mask(0x00000100) size(1) SyncID(0)
	v_mfma_f32_16x16x16f16 a[60:63], v[248:249], v[242:243], a[60:63]
	; sched_group_barrier mask(0x00000008) size(1) SyncID(0)
	; sched_group_barrier mask(0x00000100) size(1) SyncID(0)
	v_mfma_f32_16x16x16f16 a[124:127], v[250:251], v[172:173], a[124:127]
	v_mfma_f32_16x16x16f16 a[120:123], v[252:253], v[172:173], a[120:123]
	;; [unrolled: 1-line block ×8, first 2 shown]
	; sched_barrier mask(0x00000000)
	s_waitcnt lgkmcnt(9)
	v_mfma_f32_16x16x16f16 a[128:131], v[96:97], v[16:17], 0
	v_lshl_add_u32 v116, v103, 1, v116
	ds_read_b128 v[172:175], v116 offset:32896
	v_add3_u32 v111, v111, s2, 16
	s_add_i32 s47, s47, -1
	s_add_i32 s51, s51, 16
	s_add_i32 s8, s8, 1
	v_add3_u32 v147, v103, v147, v102
	v_mfma_f32_16x16x16f16 a[128:131], v[98:99], v[18:19], a[128:131]
	ds_read_b128 v[176:179], v115 offset:8192
	v_add_u32_e32 v108, 64, v108
	s_cmp_lg_u32 s47, 0
	; sched_group_barrier mask(0x00000008) size(1) SyncID(0)
	; sched_group_barrier mask(0x00000100) size(1) SyncID(0)
	;; [unrolled: 1-line block ×4, first 2 shown]
	v_mfma_f32_16x16x16f16 a[132:135], v[96:97], v[20:21], 0
	ds_read_b128 v[180:183], v149 offset:8192
	; sched_group_barrier mask(0x00000008) size(1) SyncID(0)
	; sched_group_barrier mask(0x00000100) size(1) SyncID(0)
	v_mfma_f32_16x16x16f16 a[132:135], v[98:99], v[22:23], a[132:135]
	ds_read_b128 v[188:191], v150 offset:8192
	; sched_group_barrier mask(0x00000008) size(1) SyncID(0)
	; sched_group_barrier mask(0x00000100) size(1) SyncID(0)
	;; [unrolled: 4-line block ×6, first 2 shown]
	s_waitcnt lgkmcnt(7)
	v_mfma_f32_16x16x16f16 a[128:131], v[172:173], v[0:1], a[128:131]
	ds_read_b128 v[96:99], v112 offset:32832
	; sched_group_barrier mask(0x00000008) size(1) SyncID(0)
	; sched_group_barrier mask(0x00000100) size(1) SyncID(0)
	v_mfma_f32_16x16x16f16 a[128:131], v[174:175], v[2:3], a[128:131]
	; sched_group_barrier mask(0x00000008) size(1) SyncID(0)
	; sched_group_barrier mask(0x00000100) size(1) SyncID(0)
	v_mfma_f32_16x16x16f16 a[132:135], v[172:173], v[4:5], a[132:135]
	; sched_group_barrier mask(0x00000008) size(1) SyncID(0)
	; sched_group_barrier mask(0x00000100) size(1) SyncID(0)
	s_nop 7
	s_nop 1
	v_accvgpr_read_b32 v116, a128
	v_mul_f32_e32 v116, s95, v116
	v_mfma_f32_16x16x16f16 a[132:135], v[174:175], v[6:7], a[132:135]
	v_accvgpr_read_b32 v246, a129
	v_accvgpr_read_b32 v117, a130
	v_mul_f32_e32 v246, s95, v246
	v_accvgpr_read_b32 v247, a131
	v_mul_f32_e32 v117, s95, v117
	v_mul_f32_e32 v247, s95, v247
	; sched_group_barrier mask(0x00000008) size(1) SyncID(0)
	; sched_group_barrier mask(0x00000100) size(1) SyncID(0)
	v_mfma_f32_16x16x16f16 a[136:139], v[172:173], v[12:13], a[136:139]
	; sched_group_barrier mask(0x00000008) size(1) SyncID(0)
	; sched_group_barrier mask(0x00000100) size(1) SyncID(0)
	s_nop 3
	v_accvgpr_read_b32 v118, a132
	v_accvgpr_read_b32 v248, a133
	v_mfma_f32_16x16x16f16 a[136:139], v[174:175], v[14:15], a[136:139]
	v_mul_f32_e32 v118, s95, v118
	v_accvgpr_read_b32 v119, a134
	v_mul_f32_e32 v248, s95, v248
	v_accvgpr_read_b32 v249, a135
	v_mul_f32_e32 v119, s95, v119
	v_mul_f32_e32 v249, s95, v249
	; sched_group_barrier mask(0x00000008) size(1) SyncID(0)
	; sched_group_barrier mask(0x00000100) size(1) SyncID(0)
	v_mfma_f32_16x16x16f16 a[140:143], v[172:173], v[8:9], a[140:143]
	; sched_group_barrier mask(0x00000008) size(1) SyncID(0)
	; sched_group_barrier mask(0x00000100) size(1) SyncID(0)
	s_nop 3
	v_accvgpr_read_b32 v242, a136
	v_accvgpr_read_b32 v243, a138
	v_mul_f32_e32 v120, s95, v242
	v_mul_f32_e32 v122, s95, v243
	v_mad_u64_u32 v[242:243], s[2:3], v111, s41, v[240:241]
	v_lshlrev_b32_e32 v111, 2, v242
	v_mfma_f32_16x16x16f16 a[140:143], v[174:175], v[10:11], a[140:143]
	ds_read_b128 v[172:175], v114 offset:8192
	buffer_atomic_add_f32 v116, v111, s[80:83], 0 offen
	v_add_u32_e32 v111, s41, v242
	v_lshlrev_b32_e32 v116, 2, v111
	v_add_u32_e32 v111, s41, v111
	buffer_atomic_add_f32 v246, v116, s[80:83], 0 offen
	v_lshlrev_b32_e32 v116, 2, v111
	v_add_u32_e32 v111, s41, v111
	buffer_atomic_add_f32 v117, v116, s[80:83], 0 offen
	;; [unrolled: 3-line block ×6, first 2 shown]
	v_lshlrev_b32_e32 v116, 2, v111
	v_add_u32_e32 v111, s53, v111
	v_accvgpr_read_b32 v250, a137
	buffer_atomic_add_f32 v249, v116, s[80:83], 0 offen
	v_lshlrev_b32_e32 v116, 2, v111
	v_add_u32_e32 v111, s41, v111
	v_mul_f32_e32 v121, s95, v250
	buffer_atomic_add_f32 v120, v116, s[80:83], 0 offen
	v_lshlrev_b32_e32 v116, 2, v111
	v_add_u32_e32 v111, s41, v111
	v_accvgpr_read_b32 v251, a139
	buffer_atomic_add_f32 v121, v116, s[80:83], 0 offen
	v_lshlrev_b32_e32 v116, 2, v111
	v_add_u32_e32 v111, s41, v111
	v_accvgpr_read_b32 v244, a140
	v_mul_f32_e32 v123, s95, v251
	buffer_atomic_add_f32 v122, v116, s[80:83], 0 offen
	v_lshlrev_b32_e32 v116, 2, v111
	v_add_u32_e32 v111, s53, v111
	v_accvgpr_read_b32 v252, a141
	v_mul_f32_e32 v244, s95, v244
	;; [unrolled: 5-line block ×4, first 2 shown]
	buffer_atomic_add_f32 v250, v116, s[80:83], 0 offen
	v_lshlrev_b32_e32 v116, 2, v111
	v_mul_f32_e32 v251, s95, v253
	buffer_atomic_add_f32 v245, v116, s[80:83], 0 offen
	v_add_lshl_u32 v111, v111, s41, 2
	buffer_atomic_add_f32 v251, v111, s[80:83], 0 offen
	v_readlane_b32 s2, v254, 59
	v_add_u32_e32 v110, s2, v110
	v_readlane_b32 s2, v254, 61
	v_add_u32_e32 v109, s2, v109
	; sched_group_barrier mask(0x00000008) size(1) SyncID(0)
	; sched_group_barrier mask(0x00000100) size(1) SyncID(0)
	s_cbranch_scc0 .LBB1_19
.LBB1_16:                               ;   Parent Loop BB1_4 Depth=1
                                        ; =>  This Inner Loop Header: Depth=2
	v_mfma_f32_16x16x16f16 a[128:131], v[236:237], v[84:85], 0
	; sched_group_barrier mask(0x00000020) size(1) SyncID(0)
	; sched_group_barrier mask(0x00000008) size(1) SyncID(0)
	;; [unrolled: 1-line block ×3, first 2 shown]
	v_mfma_f32_16x16x16f16 a[128:131], v[238:239], v[86:87], a[128:131]
	; sched_group_barrier mask(0x00000008) size(1) SyncID(0)
	; sched_group_barrier mask(0x00000100) size(2) SyncID(0)
	; sched_group_barrier mask(0x00000020) size(1) SyncID(0)
	v_mfma_f32_16x16x16f16 a[128:131], v[232:233], v[88:89], a[128:131]
	; sched_group_barrier mask(0x00000008) size(1) SyncID(0)
	; sched_group_barrier mask(0x00000100) size(2) SyncID(0)
	v_mfma_f32_16x16x16f16 a[128:131], v[234:235], v[90:91], a[128:131]
	; sched_group_barrier mask(0x00000008) size(1) SyncID(0)
	; sched_group_barrier mask(0x00000100) size(2) SyncID(0)
	; sched_group_barrier mask(0x00000020) size(1) SyncID(0)
	v_mfma_f32_16x16x16f16 a[128:131], v[228:229], v[92:93], a[128:131]
	; sched_group_barrier mask(0x00000008) size(1) SyncID(0)
	; sched_group_barrier mask(0x00000100) size(2) SyncID(0)
	;; [unrolled: 7-line block ×5, first 2 shown]
	v_mfma_f32_16x16x16f16 a[128:131], v[218:219], v[74:75], a[128:131]
	; sched_group_barrier mask(0x00000008) size(1) SyncID(0)
	; sched_group_barrier mask(0x00000100) size(2) SyncID(0)
	v_mfma_f32_16x16x16f16 a[128:131], v[212:213], v[68:69], a[128:131]
	; sched_group_barrier mask(0x00000008) size(1) SyncID(0)
	; sched_group_barrier mask(0x00000100) size(2) SyncID(0)
	v_mfma_f32_16x16x16f16 a[128:131], v[214:215], v[70:71], a[128:131]
	; sched_group_barrier mask(0x00000008) size(1) SyncID(0)
	; sched_group_barrier mask(0x00000100) size(2) SyncID(0)
	v_mfma_f32_16x16x16f16 a[128:131], v[208:209], v[64:65], a[128:131]
	; sched_group_barrier mask(0x00000008) size(1) SyncID(0)
	; sched_group_barrier mask(0x00000100) size(2) SyncID(0)
	v_mfma_f32_16x16x16f16 a[128:131], v[210:211], v[66:67], a[128:131]
	; sched_group_barrier mask(0x00000008) size(1) SyncID(0)
	; sched_group_barrier mask(0x00000100) size(2) SyncID(0)
	s_nop 7
	s_nop 2
	v_accvgpr_read_b32 v209, a128
	v_accvgpr_read_b32 v210, a129
	;; [unrolled: 1-line block ×4, first 2 shown]
	; sched_barrier mask(0x00000000)
	v_readfirstlane_b32 s2, v241
	s_lshl_b32 s3, s2, 4
	s_lshl_b32 s2, s2, 2
	v_add_u32_e32 v111, s51, v144
	s_and_b32 s2, s2, -16
	s_and_b32 s3, s3, 48
	v_add_u32_e32 v212, s2, v111
	v_add_u32_e32 v208, 16, v212
	;; [unrolled: 1-line block ×3, first 2 shown]
	s_add_i32 s3, s2, s51
	v_accvgpr_read_b32 v116, a214
	v_cndmask_b32_e64 v208, 0, v208, s[0:1]
	v_add_u32_e32 v215, s3, v116
	v_add_u32_e32 v208, v208, v214
	;; [unrolled: 1-line block ×3, first 2 shown]
	v_and_b32_e32 v208, 0xffff, v208
	v_and_b32_e32 v216, 0xffff, v216
	v_sad_u16 v208, v208, v216, 0
	v_cvt_f32_u32_sdwa v208, v208 dst_sel:DWORD dst_unused:UNUSED_PAD src0_sel:WORD_0
	v_add_u32_e32 v216, 17, v215
	v_and_b32_e32 v216, 0xffff, v216
	v_accvgpr_read_b32 v116, a248
	v_mul_f32_e32 v208, v145, v208
	v_fmac_f32_e32 v208, s36, v209
	v_add_u32_e32 v209, 17, v212
	v_cndmask_b32_e64 v209, 0, v209, s[0:1]
	v_add_u32_e32 v209, v209, v214
	v_and_b32_e32 v209, 0xffff, v209
	v_sad_u16 v209, v209, v216, 0
	v_cvt_f32_u32_sdwa v209, v209 dst_sel:DWORD dst_unused:UNUSED_PAD src0_sel:WORD_0
	s_add_i32 s4, s51, 32
	v_mul_f32_e32 v209, v145, v209
	v_fmac_f32_e32 v209, s36, v210
	v_add_u32_e32 v210, 18, v212
	v_cndmask_b32_e64 v210, 0, v210, s[0:1]
	v_add_u32_e32 v210, v210, v214
	v_add_u32_e32 v212, 18, v215
	v_and_b32_e32 v210, 0xffff, v210
	v_and_b32_e32 v212, 0xffff, v212
	v_sad_u16 v210, v210, v212, 0
	v_cvt_f32_u32_sdwa v210, v210 dst_sel:DWORD dst_unused:UNUSED_PAD src0_sel:WORD_0
	v_add_u32_e32 v212, s51, v116
	v_accvgpr_read_b32 v116, a213
	v_mul_f32_e32 v210, v145, v210
	v_fmac_f32_e32 v210, s36, v211
	v_add3_u32 v211, v212, s2, 16
	v_cndmask_b32_e64 v211, 0, v211, s[0:1]
	v_add_u32_e32 v211, v211, v214
	v_add3_u32 v214, s3, v116, 16
	v_and_b32_e32 v211, 0xffff, v211
	v_and_b32_e32 v214, 0xffff, v214
	s_add_i32 s2, s28, s51
	v_sad_u16 v211, v211, v214, 0
	s_add_i32 s2, s2, 16
	v_cvt_f32_u32_sdwa v211, v211 dst_sel:DWORD dst_unused:UNUSED_PAD src0_sel:WORD_0
	s_min_i32 s2, s2, s35
	s_cmp_gt_i32 s61, s2
	s_cselect_b64 s[2:3], -1, 0
	s_cmp_gt_i32 s4, s60
	s_cselect_b64 s[4:5], -1, 0
	v_mul_f32_e32 v211, v145, v211
	s_or_b64 s[2:3], s[2:3], s[4:5]
	v_fmac_f32_e32 v211, s36, v213
	s_andn2_b64 vcc, exec, s[2:3]
	s_cbranch_vccnz .LBB1_15
; %bb.17:                               ;   in Loop: Header=BB1_16 Depth=2
	v_readfirstlane_b32 s2, v241
	s_lshl_b32 s3, s2, 4
	s_lshl_b32 s2, s2, 2
	s_and_b32 s9, s2, -16
	s_add_i32 s10, s9, s51
	v_accvgpr_read_b32 v116, a252
	v_add_u32_e32 v216, s10, v116
	v_accvgpr_read_b32 v116, a251
	v_add_u32_e32 v218, s10, v116
	v_and_or_b32 v213, s3, 48, v124
	v_add_u32_e32 v214, s9, v111
	v_add_u32_e32 v219, 16, v218
	;; [unrolled: 1-line block ×4, first 2 shown]
	v_min_i32_e32 v219, s35, v219
	v_add_u32_e32 v217, 16, v216
	v_cmp_gt_i32_e64 s[2:3], v219, v213
	v_cmp_gt_i32_e64 s[4:5], s34, v215
	v_add_u32_e32 v219, 17, v218
	v_cmp_lt_i32_e32 vcc, v217, v213
	s_and_b64 s[2:3], s[2:3], s[4:5]
	v_add_u32_e32 v215, 17, v214
	v_min_i32_e32 v219, s35, v219
	s_and_b64 vcc, s[2:3], vcc
	v_add_u32_e32 v217, 17, v216
	v_cmp_gt_i32_e64 s[2:3], v219, v213
	v_cmp_gt_i32_e64 s[4:5], s34, v215
	v_cndmask_b32_e32 v208, v146, v208, vcc
	v_cmp_lt_i32_e32 vcc, v217, v213
	s_and_b64 s[2:3], s[2:3], s[4:5]
	v_add_u32_e32 v214, 18, v214
	v_add_u32_e32 v215, 18, v216
	;; [unrolled: 1-line block ×3, first 2 shown]
	v_accvgpr_read_b32 v116, a207
	s_and_b64 vcc, s[2:3], vcc
	v_min_i32_e32 v216, s35, v216
	v_cmp_gt_i32_e64 s[4:5], s34, v214
	v_add3_u32 v214, s10, v116, 16
	v_accvgpr_read_b32 v116, a255
	v_cndmask_b32_e32 v209, v146, v209, vcc
	v_cmp_lt_i32_e32 vcc, v215, v213
	v_cmp_gt_i32_e64 s[2:3], v216, v213
	v_add3_u32 v215, s10, v116, 16
	s_and_b64 s[2:3], s[2:3], s[4:5]
	v_add3_u32 v212, v212, s9, 16
	v_min_i32_e32 v215, s35, v215
	s_and_b64 vcc, s[2:3], vcc
	v_cmp_gt_i32_e64 s[2:3], v215, v213
	v_cmp_gt_i32_e64 s[4:5], s34, v212
	v_cndmask_b32_e32 v210, v146, v210, vcc
	v_cmp_lt_i32_e32 vcc, v214, v213
	s_and_b64 s[2:3], s[2:3], s[4:5]
	s_and_b64 vcc, s[2:3], vcc
	v_cndmask_b32_e32 v211, v146, v211, vcc
	s_branch .LBB1_15
.LBB1_18:                               ;   in Loop: Header=BB1_4 Depth=1
	v_accvgpr_write_b32 a217, v173
	v_accvgpr_write_b32 a216, v98
	s_mov_b64 s[2:3], -1
                                        ; implicit-def: $agpr63
                                        ; implicit-def: $agpr3
                                        ; implicit-def: $agpr71
                                        ; implicit-def: $agpr7
                                        ; implicit-def: $agpr43
                                        ; implicit-def: $agpr11
                                        ; implicit-def: $agpr51
                                        ; implicit-def: $agpr19
                                        ; implicit-def: $agpr55
                                        ; implicit-def: $agpr31
                                        ; implicit-def: $agpr59
                                        ; implicit-def: $agpr27
                                        ; implicit-def: $agpr67
                                        ; implicit-def: $agpr15
                                        ; implicit-def: $agpr75
                                        ; implicit-def: $agpr23
                                        ; implicit-def: $agpr115
                                        ; implicit-def: $agpr79
                                        ; implicit-def: $agpr91
                                        ; implicit-def: $agpr83
                                        ; implicit-def: $agpr95
                                        ; implicit-def: $agpr39
                                        ; implicit-def: $agpr103
                                        ; implicit-def: $agpr47
                                        ; implicit-def: $agpr111
                                        ; implicit-def: $agpr35
                                        ; implicit-def: $agpr119
                                        ; implicit-def: $agpr107
                                        ; implicit-def: $agpr123
                                        ; implicit-def: $agpr99
                                        ; implicit-def: $agpr127
                                        ; implicit-def: $agpr87
                                        ; implicit-def: $vgpr173
                                        ; implicit-def: $vgpr177
                                        ; implicit-def: $vgpr181
                                        ; implicit-def: $vgpr189
                                        ; implicit-def: $vgpr193
                                        ; implicit-def: $vgpr197
                                        ; implicit-def: $vgpr201
                                        ; implicit-def: $vgpr185
                                        ; implicit-def: $vgpr237
                                        ; implicit-def: $vgpr233
                                        ; implicit-def: $vgpr229
                                        ; implicit-def: $vgpr225
                                        ; implicit-def: $vgpr221
                                        ; implicit-def: $vgpr217
                                        ; implicit-def: $vgpr213
                                        ; implicit-def: $vgpr209
                                        ; implicit-def: $vgpr147
                                        ; implicit-def: $vgpr99
                                        ; implicit-def: $sgpr63
                                        ; implicit-def: $vgpr204
                                        ; implicit-def: $sgpr4
                                        ; implicit-def: $vgpr148
                                        ; implicit-def: $sgpr61
                                        ; implicit-def: $sgpr60
	s_branch .LBB1_20
.LBB1_19:                               ;   in Loop: Header=BB1_4 Depth=1
	s_add_i32 s63, s51, 16
	s_add_i32 s4, s51, 32
	s_mov_b64 s[2:3], 0
	s_mov_b32 s47, s12
	s_mov_b32 s51, s13
	s_mov_b32 s91, s14
	s_mov_b32 s83, s59
	v_accvgpr_read_b32 v102, a218
.LBB1_20:                               ;   in Loop: Header=BB1_4 Depth=1
	v_readlane_b32 s8, v255, 4
	v_readlane_b32 s72, v255, 12
	s_and_b64 vcc, exec, s[2:3]
	v_readlane_b32 s12, v255, 8
	v_readlane_b32 s13, v255, 9
	;; [unrolled: 1-line block ×5, first 2 shown]
	s_mov_b32 s79, s19
	v_readlane_b32 s9, v255, 5
	v_readlane_b32 s10, v255, 6
	;; [unrolled: 1-line block ×3, first 2 shown]
	s_cbranch_vccz .LBB1_22
; %bb.21:                               ;   in Loop: Header=BB1_4 Depth=1
	s_add_i32 s4, s57, 16
	s_add_i32 s61, s7, 64
	s_min_i32 s60, s83, s34
	v_accvgpr_write_b32 a63, 0
	v_accvgpr_write_b32 a62, 0
	;; [unrolled: 1-line block ×128, first 2 shown]
	v_mov_b32_e32 v148, v102
	s_waitcnt lgkmcnt(0)
	v_mov_b32_e32 v96, v168
	v_mov_b32_e32 v97, v169
	;; [unrolled: 1-line block ×7, first 2 shown]
	s_mov_b32 s63, s57
	v_mov_b32_e32 v99, v171
	v_accvgpr_read_b32 v147, a217
	v_mov_b32_e32 v210, v162
	v_mov_b32_e32 v211, v163
	;; [unrolled: 1-line block ×8, first 2 shown]
	v_accvgpr_read_b32 v218, a166
	v_accvgpr_read_b32 v219, a167
	;; [unrolled: 1-line block ×24, first 2 shown]
	v_mov_b32_e32 v186, v158
	v_mov_b32_e32 v187, v159
	;; [unrolled: 1-line block ×4, first 2 shown]
	v_accvgpr_read_b32 v202, a174
	v_accvgpr_read_b32 v203, a175
	v_accvgpr_read_b32 v200, a172
	v_accvgpr_read_b32 v201, a173
	v_accvgpr_read_b32 v198, a162
	v_accvgpr_read_b32 v199, a163
	v_accvgpr_read_b32 v196, a160
	v_accvgpr_read_b32 v197, a161
	v_accvgpr_read_b32 v194, a158
	v_accvgpr_read_b32 v195, a159
	v_accvgpr_read_b32 v192, a156
	v_accvgpr_read_b32 v193, a157
	v_accvgpr_read_b32 v190, a150
	v_accvgpr_read_b32 v191, a151
	v_accvgpr_read_b32 v188, a148
	v_accvgpr_read_b32 v189, a149
	v_accvgpr_read_b32 v182, a204
	v_accvgpr_read_b32 v183, a205
	v_accvgpr_read_b32 v180, a202
	v_accvgpr_read_b32 v181, a203
	v_accvgpr_read_b32 v178, a200
	v_accvgpr_read_b32 v179, a201
	v_accvgpr_read_b32 v176, a198
	v_accvgpr_read_b32 v177, a199
	v_accvgpr_read_b32 v174, a186
	v_accvgpr_read_b32 v175, a187
	v_accvgpr_read_b32 v172, a184
	v_accvgpr_read_b32 v173, a185
.LBB1_22:                               ;   in Loop: Header=BB1_4 Depth=1
	v_accvgpr_read_b32 v103, a3
	v_accvgpr_read_b32 v102, a2
	v_accvgpr_read_b32 v101, a1
	v_accvgpr_read_b32 v100, a0
	v_accvgpr_read_b32 v107, a7
	v_accvgpr_read_b32 v106, a6
	v_accvgpr_read_b32 v105, a5
	v_accvgpr_read_b32 v104, a4
	v_accvgpr_read_b32 v111, a43
	v_accvgpr_read_b32 v110, a42
	v_accvgpr_read_b32 v109, a41
	v_accvgpr_read_b32 v108, a40
	v_accvgpr_read_b32 v115, a11
	v_accvgpr_read_b32 v114, a10
	v_accvgpr_read_b32 v113, a9
	v_accvgpr_read_b32 v112, a8
	v_accvgpr_read_b32 v119, a51
	v_accvgpr_read_b32 v118, a50
	v_accvgpr_read_b32 v117, a49
	v_accvgpr_read_b32 v116, a48
	v_accvgpr_read_b32 v123, a19
	v_accvgpr_read_b32 v122, a18
	v_accvgpr_read_b32 v121, a17
	v_accvgpr_read_b32 v120, a16
	; sched_barrier mask(0x00000000)
	v_mfma_f32_16x16x16f16 a[0:3], v[236:237], v[84:85], 0
	v_readfirstlane_b32 s2, v241
	s_and_b32 s5, s2, 0x3ffffffc
	s_lshl_b32 s3, s2, 4
	s_and_b32 s3, s3, 48
	s_lshl_b32 s2, s2, 2
	s_and_b32 s2, s2, -16
	v_mfma_f32_16x16x16f16 a[0:3], v[238:239], v[86:87], a[0:3]
	v_mfma_f32_16x16x16f16 a[0:3], v[232:233], v[88:89], a[0:3]
	;; [unrolled: 1-line block ×6, first 2 shown]
	v_accvgpr_read_b32 v224, a209
	v_add_u32_e32 v80, s5, v224
	v_lshl_add_u32 v80, v80, 2, s63
	v_add_u32_e32 v81, s3, v148
	v_readlane_b32 s3, v254, 63
	v_mfma_f32_16x16x16f16 a[0:3], v[226:227], v[82:83], a[0:3]
	v_cndmask_b32_e64 v82, 0, v80, s[0:1]
	v_mfma_f32_16x16x16f16 a[0:3], v[220:221], v[76:77], a[0:3]
	v_add_u32_e32 v76, v82, v81
	v_add_u32_e32 v77, s3, v80
	v_and_b32_e32 v76, 0xffff, v76
	v_and_b32_e32 v77, 0xffff, v77
	v_sad_u16 v77, v76, v77, 0
	v_cvt_f32_u32_sdwa v77, v77 dst_sel:DWORD dst_unused:UNUSED_PAD src0_sel:WORD_0
	v_mfma_f32_16x16x16f16 a[0:3], v[222:223], v[78:79], a[0:3]
	v_add_u32_e32 v78, s63, v144
	v_add_u32_e32 v76, 1, v78
	;; [unrolled: 1-line block ×3, first 2 shown]
	v_cndmask_b32_e64 v80, 0, v79, s[0:1]
	v_add_u32_e32 v80, v80, v81
	v_add_u32_e32 v79, s3, v79
	v_mfma_f32_16x16x16f16 a[0:3], v[216:217], v[72:73], a[0:3]
	v_and_b32_e32 v72, 0xffff, v80
	v_and_b32_e32 v73, 0xffff, v79
	v_sad_u16 v73, v72, v73, 0
	v_add_u32_e32 v72, 2, v78
	v_add_u32_e32 v78, s2, v72
	v_cndmask_b32_e64 v79, 0, v78, s[0:1]
	v_cvt_f32_u32_sdwa v80, v73 dst_sel:DWORD dst_unused:UNUSED_PAD src0_sel:WORD_0
	v_mfma_f32_16x16x16f16 a[0:3], v[218:219], v[74:75], a[0:3]
	v_add_u32_e32 v73, v79, v81
	v_add_u32_e32 v74, s3, v78
	v_and_b32_e32 v73, 0xffff, v73
	v_and_b32_e32 v74, 0xffff, v74
	v_sad_u16 v74, v73, v74, 0
	v_accvgpr_read_b32 v73, a248
	v_add_u32_e32 v73, s63, v73
	v_mfma_f32_16x16x16f16 a[0:3], v[212:213], v[68:69], a[0:3]
	v_add_u32_e32 v68, s2, v73
	v_cndmask_b32_e64 v69, 0, v68, s[0:1]
	v_add_u32_e32 v69, v69, v81
	v_add_u32_e32 v68, s3, v68
	v_and_b32_e32 v69, 0xffff, v69
	v_and_b32_e32 v75, 0xffff, v68
	v_sad_u16 v69, v69, v75, 0
	v_mfma_f32_16x16x16f16 a[0:3], v[214:215], v[70:71], a[0:3]
	s_add_i32 s2, s63, s28
	v_cvt_f32_u32_sdwa v74, v74 dst_sel:DWORD dst_unused:UNUSED_PAD src0_sel:WORD_0
	v_cvt_f32_u32_sdwa v70, v69 dst_sel:DWORD dst_unused:UNUSED_PAD src0_sel:WORD_0
	s_min_i32 s2, s2, s35
	s_cmp_gt_i32 s61, s2
	s_cselect_b64 s[2:3], -1, 0
	s_cmp_gt_i32 s4, s60
	v_mfma_f32_16x16x16f16 a[0:3], v[208:209], v[64:65], a[0:3]
	s_cselect_b64 s[4:5], -1, 0
	v_mul_f32_e32 v68, v145, v77
	v_mul_f32_e32 v69, v145, v80
	s_or_b64 s[2:3], s[2:3], s[4:5]
	v_mul_f32_e32 v65, v145, v74
	v_mul_f32_e32 v64, v145, v70
	s_andn2_b64 vcc, exec, s[2:3]
	v_mfma_f32_16x16x16f16 a[0:3], v[210:211], v[66:67], a[0:3]
	s_nop 7
	s_nop 2
	v_accvgpr_read_b32 v66, a0
	v_accvgpr_read_b32 v67, a1
	;; [unrolled: 1-line block ×4, first 2 shown]
	v_fmac_f32_e32 v68, s36, v66
	v_fmac_f32_e32 v69, s36, v67
	v_fmac_f32_e32 v65, s36, v70
	v_fmac_f32_e32 v64, s36, v71
	s_cbranch_vccnz .LBB1_24
; %bb.23:                               ;   in Loop: Header=BB1_4 Depth=1
	v_readfirstlane_b32 s8, v241
	s_lshl_b32 s2, s8, 4
	v_and_or_b32 v66, s2, 48, v124
	s_and_b32 s2, s8, 0x3ffffffc
	v_add_u32_e32 v67, s2, v224
	v_lshl_add_u32 v67, v67, 2, s63
	v_add_u32_e32 v71, s28, v67
	v_add_u32_e32 v66, s7, v66
	v_readlane_b32 s9, v254, 62
	v_min_i32_e32 v71, s35, v71
	v_subrev_u32_e32 v70, s9, v67
	v_cmp_gt_i32_e64 s[2:3], v71, v66
	v_cmp_gt_i32_e64 s[4:5], s34, v67
	v_cmp_lt_i32_e32 vcc, v70, v66
	s_and_b64 s[2:3], s[2:3], s[4:5]
	s_and_b64 vcc, s[2:3], vcc
	s_lshl_b32 s2, s8, 2
	s_and_b32 s8, s2, -16
	v_add_u32_e32 v67, s8, v76
	v_add_u32_e32 v71, s28, v67
	v_subrev_u32_e32 v70, s9, v67
	v_min_i32_e32 v71, s35, v71
	v_cmp_gt_i32_e64 s[4:5], s34, v67
	v_add_u32_e32 v67, s8, v72
	v_cmp_gt_i32_e64 s[2:3], v71, v66
	v_add_u32_e32 v71, s28, v67
	v_cndmask_b32_e32 v68, v146, v68, vcc
	v_cmp_lt_i32_e32 vcc, v70, v66
	s_and_b64 s[2:3], s[2:3], s[4:5]
	v_subrev_u32_e32 v70, s9, v67
	v_min_i32_e32 v71, s35, v71
	v_cmp_gt_i32_e64 s[4:5], s34, v67
	v_add_u32_e32 v67, s8, v73
	s_and_b64 vcc, s[2:3], vcc
	v_cmp_gt_i32_e64 s[2:3], v71, v66
	v_add_u32_e32 v71, s28, v67
	v_cndmask_b32_e32 v69, v146, v69, vcc
	v_cmp_lt_i32_e32 vcc, v70, v66
	s_and_b64 s[2:3], s[2:3], s[4:5]
	v_min_i32_e32 v71, s35, v71
	s_and_b64 vcc, s[2:3], vcc
	v_subrev_u32_e32 v70, s9, v67
	v_cmp_gt_i32_e64 s[2:3], v71, v66
	v_cmp_gt_i32_e64 s[4:5], s34, v67
	v_cndmask_b32_e32 v65, v146, v65, vcc
	v_cmp_lt_i32_e32 vcc, v70, v66
	s_and_b64 s[2:3], s[2:3], s[4:5]
	s_and_b64 vcc, s[2:3], vcc
	v_cndmask_b32_e32 v64, v146, v64, vcc
.LBB1_24:                               ;   in Loop: Header=BB1_4 Depth=1
	v_readlane_b32 s2, v255, 2
	v_readlane_b32 s3, v255, 3
	s_mov_b32 s44, s2
	v_readfirstlane_b32 s2, v241
	v_mul_f32_e32 v66, 0x3fb8aa3b, v204
	v_cmp_neq_f32_e32 vcc, s48, v204
	s_ashr_i32 s3, s2, 31
	v_cndmask_b32_e32 v66, 0, v66, vcc
	s_lshr_b32 s3, s3, 30
	v_sub_f32_e32 v66, v68, v66
	s_add_i32 s3, s2, s3
	v_exp_f32_e32 v72, v66
	v_mul_f32_e32 v66, 0x3fb8aa3b, v205
	v_cmp_neq_f32_e32 vcc, s48, v205
	s_ashr_i32 s4, s3, 2
	s_lshr_b32 s5, s63, 4
	v_cndmask_b32_e32 v66, 0, v66, vcc
	s_add_i32 s4, s4, s5
	s_ashr_i32 s5, s7, 31
	v_sub_f32_e32 v66, v69, v66
	s_lshr_b32 s5, s5, 28
	v_exp_f32_e32 v73, v66
	v_mul_f32_e32 v66, 0x3fb8aa3b, v206
	v_cmp_neq_f32_e32 vcc, s48, v206
	s_and_b32 s3, s3, -4
	s_add_i32 s5, s7, s5
	v_cndmask_b32_e32 v66, 0, v66, vcc
	s_sub_i32 s3, s2, s3
	s_ashr_i32 s5, s5, 4
	v_sub_f32_e32 v65, v65, v66
	s_add_i32 s3, s3, s5
	s_lshr_b32 s5, s4, 31
	v_exp_f32_e32 v74, v65
	v_mul_f32_e32 v65, 0x3fb8aa3b, v207
	v_cmp_neq_f32_e32 vcc, s48, v207
	s_add_i32 s5, s4, s5
	s_lshr_b32 s9, s3, 31
	v_cndmask_b32_e32 v65, 0, v65, vcc
	s_ashr_i32 s8, s5, 1
	s_add_i32 s9, s3, s9
	s_and_b32 s5, s5, 0x7ffffffe
	v_sub_f32_e32 v64, v64, v65
	s_sub_i32 s4, s4, s5
	s_and_b32 s5, s9, 0xffffffe
	v_exp_f32_e32 v75, v64
	s_sub_i32 s3, s3, s5
	v_accvgpr_read_b32 v64, a249
	v_lshl_add_u32 v64, s3, 4, v64
	v_ashrrev_i32_e32 v65, 31, v64
	v_add_co_u32_e32 v64, vcc, s55, v64
	v_mov_b32_e32 v66, s33
	v_addc_co_u32_e32 v66, vcc, v66, v65, vcc
	v_accvgpr_read_b32 v65, a211
	v_lshl_or_b32 v76, s4, 1, v65
	v_mad_u64_u32 v[64:65], s[4:5], v64, s49, 0
	s_mul_hi_u32 s4, s8, 0xcd9e8d57
	s_ashr_i32 s10, s9, 1
	s_xor_b32 s4, s25, s4
	v_xor_b32_e32 v66, s4, v66
	s_xor_b32 s4, s46, s10
	v_xor_b32_e32 v65, s4, v65
	s_add_i32 s10, s46, 0xbb67ae85
	v_mad_u64_u32 v[66:67], s[4:5], v66, s49, 0
	s_mul_i32 s9, s8, 0xcd9e8d57
	s_add_i32 s8, s25, 0x9e3779b9
	v_mad_u64_u32 v[68:69], s[4:5], v65, s50, 0
	v_xor_b32_e32 v67, s10, v67
	s_xor_b32 s4, s9, s8
	v_xor_b32_e32 v67, v67, v64
	v_xor_b32_e32 v65, s4, v69
	s_add_i32 s8, s25, 0x3c6ef372
	v_mad_u64_u32 v[70:71], s[4:5], v67, s50, 0
	s_add_i32 s9, s46, 0x76cf5d0a
	v_mad_u64_u32 v[64:65], s[4:5], v65, s49, 0
	v_xor_b32_e32 v67, s8, v71
	v_xor_b32_e32 v67, v67, v68
	v_xor_b32_e32 v65, s9, v65
	v_xor_b32_e32 v65, v65, v66
	s_add_i32 s9, s46, 0x32370b8f
	v_mad_u64_u32 v[66:67], s[4:5], v67, s49, 0
	s_add_i32 s8, s25, 0xdaa66d2b
	v_mad_u64_u32 v[68:69], s[4:5], v65, s50, 0
	v_xor_b32_e32 v67, s9, v67
	v_xor_b32_e32 v65, s8, v69
	;; [unrolled: 8-line block ×3, first 2 shown]
	v_xor_b32_e32 v65, s9, v65
	v_xor_b32_e32 v65, v65, v66
	s_add_i32 s8, s46, 0xa9066899
	v_mad_u64_u32 v[66:67], s[4:5], v67, s49, 0
	s_add_i32 s3, s25, 0xb54cda56
	s_add_i32 s25, s25, 0x1715609d
	v_mad_u64_u32 v[68:69], s[4:5], v65, s50, 0
	v_xor_b32_e32 v67, s8, v67
	v_xor_b32_e32 v65, s25, v69
	;; [unrolled: 1-line block ×4, first 2 shown]
	v_mad_u64_u32 v[70:71], s[4:5], v67, s50, 0
	v_mad_u64_u32 v[64:65], s[4:5], v65, s49, 0
	v_xor_b32_e32 v67, v71, v68
	s_add_i32 s46, s46, 0x646e171e
	v_xor_b32_e32 v67, s3, v67
	v_xor_b32_e32 v65, v65, v66
	v_cmp_eq_u32_e32 vcc, 1, v76
	v_xor_b32_e32 v65, s46, v65
	v_cndmask_b32_e32 v66, v67, v70, vcc
	v_cmp_eq_u32_e32 vcc, 2, v76
	v_cndmask_b32_e32 v65, v66, v65, vcc
	v_cmp_eq_u32_e32 vcc, 3, v76
	v_cndmask_b32_e32 v64, v65, v64, vcc
	v_and_b32_e32 v65, 0xff, v64
	v_lshrrev_b32_e32 v66, 8, v64
	v_and_b32_e32 v66, 0xff, v66
	s_movk_i32 s3, 0xff
	v_cmp_lt_u16_sdwa s[4:5], s93, v65 src0_sel:BYTE_0 src1_sel:DWORD
	v_and_b32_sdwa v67, v64, s3 dst_sel:DWORD dst_unused:UNUSED_PAD src0_sel:WORD_1 src1_sel:DWORD
	v_cndmask_b32_e64 v149, v72, -v72, s[4:5]
	v_cmp_lt_u16_sdwa s[4:5], s93, v66 src0_sel:BYTE_0 src1_sel:DWORD
	v_cndmask_b32_e64 v145, v73, -v73, s[4:5]
	v_cmp_lt_u16_sdwa s[4:5], s93, v67 src0_sel:BYTE_0 src1_sel:DWORD
	v_cndmask_b32_e64 v150, v74, -v74, s[4:5]
	v_max_f32_e32 v66, 0, v150
	v_accvgpr_read_b32 v67, a247
	v_lshrrev_b32_e32 v64, 24, v64
	v_cvt_f16_f32_e32 v68, v66
	ds_read_b32 v66, v143 offset:16384
	ds_read_b32 v67, v67 offset:4096
	v_cmp_lt_u16_sdwa s[4:5], s93, v64 src0_sel:BYTE_0 src1_sel:DWORD
	v_cndmask_b32_e64 v148, v75, -v75, s[4:5]
	v_max_f32_e32 v64, 0, v149
	v_max_f32_e32 v65, 0, v145
	;; [unrolled: 1-line block ×3, first 2 shown]
	v_cvt_f16_f32_e32 v64, v64
	v_cvt_f16_f32_e32 v69, v69
	;; [unrolled: 1-line block ×3, first 2 shown]
	v_accvgpr_write_b32 a48, v120
	v_accvgpr_write_b32 a49, v121
	v_pack_b32_f16 v65, v68, v69
	v_pack_b32_f16 v64, v64, v70
	v_accvgpr_write_b32 a50, v122
	v_accvgpr_write_b32 a51, v123
	s_waitcnt lgkmcnt(0)
	v_mfma_f32_16x16x16f16 a[0:3], v[66:67], v[64:65], a[60:63]
	v_accvgpr_read_b32 v67, a232
	ds_read_b32 v66, v128 offset:16384
	ds_read_b32 v67, v67 offset:4096
	s_waitcnt lgkmcnt(0)
	v_mfma_f32_16x16x16f16 a[4:7], v[66:67], v[64:65], a[20:23]
	v_accvgpr_read_b32 v67, a233
	ds_read_b32 v66, v130 offset:16384
	ds_read_b32 v67, v67 offset:4096
	v_accvgpr_write_b32 a60, v108
	v_accvgpr_write_b32 a61, v109
	;; [unrolled: 1-line block ×4, first 2 shown]
	s_waitcnt lgkmcnt(0)
	v_mfma_f32_16x16x16f16 a[8:11], v[66:67], v[64:65], a[72:75]
	v_accvgpr_read_b32 v67, a234
	ds_read_b32 v66, v129 offset:16384
	ds_read_b32 v67, v67 offset:4096
	s_nop 3
	v_accvgpr_write_b32 a72, v100
	v_accvgpr_write_b32 a73, v101
	v_accvgpr_write_b32 a74, v102
	v_accvgpr_write_b32 a75, v103
	s_waitcnt lgkmcnt(0)
	v_mfma_f32_16x16x16f16 a[12:15], v[66:67], v[64:65], a[12:15]
	v_accvgpr_read_b32 v67, a235
	ds_read_b32 v66, v131 offset:16384
	ds_read_b32 v67, v67 offset:4096
	v_accvgpr_read_b32 v93, a4
	v_accvgpr_read_b32 v92, a6
	v_accvgpr_read_b32 v91, a8
	v_accvgpr_read_b32 v90, a10
	s_waitcnt lgkmcnt(0)
	v_mfma_f32_16x16x16f16 a[16:19], v[66:67], v[64:65], a[64:67]
	v_accvgpr_read_b32 v67, a236
	ds_read_b32 v66, v132 offset:16384
	ds_read_b32 v67, v67 offset:4096
	s_nop 3
	v_accvgpr_write_b32 a64, v104
	v_accvgpr_write_b32 a65, v105
	v_accvgpr_write_b32 a66, v106
	v_accvgpr_write_b32 a67, v107
	s_waitcnt lgkmcnt(0)
	v_mfma_f32_16x16x16f16 a[20:23], v[66:67], v[64:65], a[24:27]
	v_accvgpr_read_b32 v67, a237
	ds_read_b32 v66, v134 offset:16384
	ds_read_b32 v67, v67 offset:4096
	v_accvgpr_read_b32 v89, a12
	v_accvgpr_read_b32 v88, a14
	v_accvgpr_read_b32 v87, a16
	v_accvgpr_read_b32 v86, a18
	s_waitcnt lgkmcnt(0)
	v_mfma_f32_16x16x16f16 a[24:27], v[66:67], v[64:65], a[56:59]
	v_accvgpr_read_b32 v67, a238
	ds_read_b32 v66, v133 offset:16384
	ds_read_b32 v67, v67 offset:4096
	s_nop 3
	v_accvgpr_write_b32 a56, v112
	v_accvgpr_write_b32 a57, v113
	v_accvgpr_write_b32 a58, v114
	v_accvgpr_write_b32 a59, v115
	s_waitcnt lgkmcnt(0)
	v_mfma_f32_16x16x16f16 a[28:31], v[66:67], v[64:65], a[28:31]
	v_accvgpr_read_b32 v67, a239
	ds_read_b32 v66, v135 offset:16384
	ds_read_b32 v67, v67 offset:4096
	v_accvgpr_read_b32 v85, a20
	v_accvgpr_read_b32 v84, a22
	v_accvgpr_read_b32 v83, a24
	v_accvgpr_read_b32 v82, a26
	s_waitcnt lgkmcnt(0)
	v_mfma_f32_16x16x16f16 a[40:43], v[66:67], v[64:65], a[52:55]
	v_accvgpr_read_b32 v67, a240
	ds_read_b32 v66, v136 offset:16384
	ds_read_b32 v67, v67 offset:4096
	s_nop 3
	v_accvgpr_write_b32 a52, v116
	v_accvgpr_write_b32 a53, v117
	v_accvgpr_write_b32 a54, v118
	v_accvgpr_write_b32 a55, v119
	s_waitcnt lgkmcnt(0)
	v_mfma_f32_16x16x16f16 a[48:51], v[66:67], v[64:65], a[48:51]
	v_accvgpr_read_b32 v67, a241
	ds_read_b32 v66, v138 offset:16384
	ds_read_b32 v67, v67 offset:4096
	v_accvgpr_read_b32 v81, a28
	v_accvgpr_read_b32 v80, a30
	v_accvgpr_read_b32 v79, a40
	v_accvgpr_read_b32 v78, a42
	s_waitcnt lgkmcnt(0)
	v_mfma_f32_16x16x16f16 a[52:55], v[66:67], v[64:65], a[52:55]
	v_accvgpr_read_b32 v67, a242
	ds_read_b32 v66, v137 offset:16384
	ds_read_b32 v67, v67 offset:4096
	v_accvgpr_read_b32 v77, a48
	v_accvgpr_read_b32 v76, a50
	s_waitcnt lgkmcnt(0)
	v_mfma_f32_16x16x16f16 a[56:59], v[66:67], v[64:65], a[56:59]
	v_accvgpr_read_b32 v67, a243
	ds_read_b32 v66, v139 offset:16384
	ds_read_b32 v67, v67 offset:4096
	s_nop 0
	v_accvgpr_read_b32 v75, a52
	v_accvgpr_read_b32 v74, a54
	s_waitcnt lgkmcnt(0)
	v_mfma_f32_16x16x16f16 a[60:63], v[66:67], v[64:65], a[60:63]
	v_accvgpr_read_b32 v67, a244
	ds_read_b32 v66, v140 offset:16384
	ds_read_b32 v67, v67 offset:4096
	v_accvgpr_read_b32 v73, a56
	v_accvgpr_read_b32 v72, a58
	s_waitcnt lgkmcnt(0)
	v_mfma_f32_16x16x16f16 a[64:67], v[66:67], v[64:65], a[64:67]
	v_accvgpr_read_b32 v67, a245
	ds_read_b32 v66, v142 offset:16384
	ds_read_b32 v67, v67 offset:4096
	s_nop 0
	v_accvgpr_read_b32 v71, a60
	v_accvgpr_read_b32 v70, a62
	s_waitcnt lgkmcnt(0)
	v_mfma_f32_16x16x16f16 a[68:71], v[66:67], v[64:65], a[68:71]
	v_accvgpr_read_b32 v66, a246
	ds_read_b32 v94, v141 offset:16384
	ds_read_b32 v95, v66 offset:4096
	v_accvgpr_read_b32 v69, a64
	v_accvgpr_read_b32 v68, a66
	s_waitcnt lgkmcnt(0)
	v_mfma_f32_16x16x16f16 a[72:75], v[94:95], v[64:65], a[72:75]
	s_nop 3
	v_accvgpr_read_b32 v67, a68
	v_accvgpr_read_b32 v66, a70
	;; [unrolled: 1-line block ×4, first 2 shown]
	; sched_group_barrier mask(0x00000008) size(1) SyncID(0)
	; sched_group_barrier mask(0x00000100) size(2) SyncID(0)
	;; [unrolled: 1-line block ×32, first 2 shown]
	s_nop 2
	v_accvgpr_read_b32 v95, a72
	v_accvgpr_read_b32 v94, a74
	; sched_barrier mask(0x00000000)
	v_mfma_f32_16x16x16f16 a[128:131], v[172:173], v[60:61], 0
	ds_read2st64_b32 v[60:61], v135 offset1:16
	ds_read2st64_b32 v[100:101], v137 offset1:16
	;; [unrolled: 1-line block ×7, first 2 shown]
	v_mfma_f32_16x16x16f16 a[128:131], v[174:175], v[62:63], a[128:131]
	ds_read2st64_b32 v[62:63], v138 offset1:16
	; sched_group_barrier mask(0x00000008) size(1) SyncID(0)
	; sched_group_barrier mask(0x00000200) size(1) SyncID(0)
	;; [unrolled: 1-line block ×4, first 2 shown]
	v_mfma_f32_16x16x16f16 a[128:131], v[176:177], v[56:57], a[128:131]
	; sched_group_barrier mask(0x00000008) size(1) SyncID(0)
	; sched_group_barrier mask(0x00000200) size(1) SyncID(0)
	v_mfma_f32_16x16x16f16 a[128:131], v[178:179], v[58:59], a[128:131]
	ds_read2st64_b32 v[58:59], v133 offset1:16
	; sched_group_barrier mask(0x00000008) size(1) SyncID(0)
	; sched_group_barrier mask(0x00000200) size(1) SyncID(0)
	v_mfma_f32_16x16x16f16 a[128:131], v[180:181], v[52:53], a[128:131]
	; sched_group_barrier mask(0x00000008) size(1) SyncID(0)
	; sched_group_barrier mask(0x00000200) size(1) SyncID(0)
	v_mfma_f32_16x16x16f16 a[128:131], v[182:183], v[54:55], a[128:131]
	;; [unrolled: 3-line block ×3, first 2 shown]
	ds_read2st64_b32 v[48:49], v132 offset1:16
	; sched_group_barrier mask(0x00000008) size(1) SyncID(0)
	; sched_group_barrier mask(0x00000200) size(1) SyncID(0)
	v_mfma_f32_16x16x16f16 a[128:131], v[190:191], v[50:51], a[128:131]
	ds_read2st64_b32 v[50:51], v134 offset1:16
	; sched_group_barrier mask(0x00000008) size(1) SyncID(0)
	; sched_group_barrier mask(0x00000200) size(1) SyncID(0)
	v_mfma_f32_16x16x16f16 a[128:131], v[192:193], v[44:45], a[128:131]
	;; [unrolled: 4-line block ×4, first 2 shown]
	; sched_group_barrier mask(0x00000008) size(1) SyncID(0)
	; sched_group_barrier mask(0x00000200) size(1) SyncID(0)
	v_mfma_f32_16x16x16f16 a[128:131], v[198:199], v[42:43], a[128:131]
	; sched_group_barrier mask(0x00000008) size(1) SyncID(0)
	; sched_group_barrier mask(0x00000200) size(1) SyncID(0)
	v_mfma_f32_16x16x16f16 a[128:131], v[200:201], v[36:37], a[128:131]
	ds_read2st64_b32 v[36:37], v128 offset1:16
	; sched_group_barrier mask(0x00000008) size(1) SyncID(0)
	; sched_group_barrier mask(0x00000200) size(1) SyncID(0)
	v_mfma_f32_16x16x16f16 a[128:131], v[202:203], v[38:39], a[128:131]
	ds_read2st64_b32 v[38:39], v130 offset1:16
	;; [unrolled: 4-line block ×3, first 2 shown]
	; sched_group_barrier mask(0x00000008) size(1) SyncID(0)
	; sched_group_barrier mask(0x00000200) size(1) SyncID(0)
	v_mfma_f32_16x16x16f16 a[128:131], v[186:187], v[34:35], a[128:131]
	; sched_group_barrier mask(0x00000008) size(1) SyncID(0)
	; sched_group_barrier mask(0x00000200) size(1) SyncID(0)
	s_nop 7
	s_nop 2
	v_accvgpr_read_b32 v34, a128
	v_accvgpr_read_b32 v35, a129
	;; [unrolled: 1-line block ×4, first 2 shown]
	; sched_barrier mask(0x00000000)
	v_cmp_nle_f32_e32 vcc, 0, v149
	v_sub_f32_e32 v34, v34, v96
	v_cndmask_b32_e32 v34, v34, v96, vcc
	v_cmp_nle_f32_e32 vcc, 0, v145
	v_sub_f32_e32 v35, v35, v97
	v_cndmask_b32_e32 v35, v35, v97, vcc
	;; [unrolled: 3-line block ×3, first 2 shown]
	v_cmp_nle_f32_e32 vcc, 0, v148
	v_sub_f32_e32 v41, v41, v99
	v_fma_mixlo_f16 v112, v149, v34, 0
	v_fma_mixlo_f16 v114, v150, v40, 0
	s_lshl_b32 s3, s2, 4
	s_lshl_b32 s2, s2, 2
	v_cndmask_b32_e32 v41, v41, v99, vcc
	v_mov_b32_e32 v98, v112
	v_mov_b32_e32 v99, v114
	s_and_b32 s2, s2, -16
	v_fma_mixhi_f16 v98, v145, v35, 0
	v_fma_mixhi_f16 v99, v148, v41, 0
	v_add_u32_e32 v97, s2, v144
	s_mov_b32 s2, 0x8080
	s_waitcnt lgkmcnt(2)
	v_mfma_f32_16x16x16f16 a[84:87], v[36:37], v[98:99], a[84:87]
	s_waitcnt lgkmcnt(0)
	s_barrier
	v_fma_mixlo_f16 v113, v145, v35, 0
	v_fma_mixlo_f16 v115, v148, v41, 0
	v_accvgpr_read_b32 v152, a23
	v_accvgpr_read_b32 v172, a75
	v_accvgpr_read_b32 v150, a19
	v_mfma_f32_16x16x16f16 a[124:127], v[38:39], v[98:99], a[124:127]
	v_accvgpr_read_b32 v151, a21
	v_accvgpr_read_b32 v153, a25
	v_accvgpr_read_b32 v154, a27
	v_accvgpr_read_b32 v41, a84
	v_accvgpr_read_b32 v40, a86
	v_accvgpr_read_b32 v155, a29
	v_accvgpr_read_b32 v156, a31
	v_mfma_f32_16x16x16f16 a[96:99], v[44:45], v[98:99], a[96:99]
	v_accvgpr_read_b32 v157, a41
	v_accvgpr_read_b32 v158, a43
	v_accvgpr_read_b32 v159, a49
	v_accvgpr_read_b32 v52, a124
	;; [unrolled: 8-line block ×6, first 2 shown]
	v_accvgpr_read_b32 v46, a118
	v_accvgpr_read_b32 v123, a117
	;; [unrolled: 1-line block ×3, first 2 shown]
	v_mfma_f32_16x16x16f16 a[108:111], v[60:61], v[98:99], a[108:111]
	v_accvgpr_read_b32 v174, a3
	; sched_group_barrier mask(0x00000008) size(1) SyncID(0)
	s_nop 1
	v_accvgpr_read_b32 v58, a32
	v_accvgpr_read_b32 v47, a34
	;; [unrolled: 1-line block ×3, first 2 shown]
	v_mfma_f32_16x16x16f16 a[44:47], v[32:33], v[98:99], a[44:47]
	v_and_or_b32 v32, s3, 48, v124
	s_nop 2
	v_accvgpr_read_b32 v59, a108
	v_accvgpr_read_b32 v48, a110
	;; [unrolled: 1-line block ×3, first 2 shown]
	v_mfma_f32_16x16x16f16 a[100:103], v[62:63], v[98:99], a[100:103]
	v_accvgpr_read_b32 v175, a111
	s_nop 1
	v_accvgpr_read_b32 v60, a44
	v_accvgpr_read_b32 v49, a46
	;; [unrolled: 1-line block ×4, first 2 shown]
	v_mfma_f32_16x16x16f16 a[36:39], v[100:101], v[98:99], a[36:39]
	v_accvgpr_read_b32 v101, a210
	v_lshl_or_b32 v101, v97, 6, v101
	s_nop 0
	v_accvgpr_read_b32 v61, a100
	v_accvgpr_read_b32 v50, a102
	;; [unrolled: 1-line block ×4, first 2 shown]
	v_mfma_f32_16x16x16f16 a[92:95], v[102:103], v[98:99], a[92:95]
	v_or_b32_e32 v103, 1, v97
	s_nop 1
	v_accvgpr_read_b32 v62, a36
	v_accvgpr_read_b32 v51, a38
	;; [unrolled: 1-line block ×4, first 2 shown]
	v_mfma_f32_16x16x16f16 a[80:83], v[104:105], v[98:99], a[80:83]
	s_nop 2
	v_accvgpr_read_b32 v63, a92
	v_accvgpr_read_b32 v54, a94
	;; [unrolled: 1-line block ×4, first 2 shown]
	v_mfma_f32_16x16x16f16 a[88:91], v[106:107], v[98:99], a[88:91]
	v_accvgpr_read_b32 v106, a5
	v_accvgpr_read_b32 v107, a7
	s_nop 0
	v_accvgpr_read_b32 v96, a80
	v_accvgpr_read_b32 v33, a82
	;; [unrolled: 1-line block ×4, first 2 shown]
	v_mfma_f32_16x16x16f16 a[76:79], v[108:109], v[98:99], a[76:79]
	v_accvgpr_read_b32 v108, a9
	v_accvgpr_read_b32 v109, a11
	s_nop 0
	v_accvgpr_read_b32 v37, a88
	v_accvgpr_read_b32 v34, a90
	v_accvgpr_read_b32 v186, a89
	v_accvgpr_read_b32 v187, a91
	v_mfma_f32_16x16x16f16 a[112:115], v[110:111], v[98:99], a[112:115]
	v_ashrrev_i32_e32 v99, 31, v97
	v_lshrrev_b32_e32 v99, 29, v99
	v_add_u32_e32 v100, v97, v99
	v_add_u32_e32 v104, v103, v99
	v_and_b32_e32 v100, -8, v100
	v_and_b32_e32 v104, -8, v104
	v_lshrrev_b32_e32 v98, 3, v32
	v_sub_u32_e32 v100, v97, v100
	v_sub_u32_e32 v103, v103, v104
	v_xor_b32_e32 v100, v100, v98
	v_xor_b32_e32 v103, v103, v98
	v_lshl_add_u32 v101, v100, 3, v101
	v_sub_u32_e32 v100, v103, v100
	v_lshlrev_b32_e32 v102, 1, v101
	v_lshl_add_u32 v101, v100, 3, v101
	v_lshlrev_b32_e32 v100, 4, v100
	ds_write_b16 v102, v112 offset:32896
	v_add3_u32 v100, v102, s2, v100
	v_or_b32_e32 v102, 2, v97
	v_add_u32_e32 v104, v102, v99
	v_and_b32_e32 v104, -8, v104
	v_sub_u32_e32 v102, v102, v104
	v_xor_b32_e32 v102, v102, v98
	v_sub_u32_e32 v103, v102, v103
	v_lshlrev_b32_e32 v104, 3, v103
	v_lshlrev_b32_e32 v103, 4, v103
	ds_write_b16 v100, v113 offset:128
	v_add3_u32 v100, v100, s45, v103
	ds_write_b16 v100, v114 offset:128
	v_or_b32_e32 v100, 3, v97
	v_add_u32_e32 v99, v100, v99
	v_and_b32_e32 v99, 0xffffff8, v99
	v_sub_u32_e32 v99, v100, v99
	v_xor_b32_e32 v98, v99, v98
	v_add_lshl_u32 v101, v101, v104, 1
	v_sub_u32_e32 v98, v98, v102
	v_lshl_add_u32 v98, v98, 4, v101
	v_lshlrev_b32_e32 v102, 1, v147
	ds_write_b16 v98, v115 offset:33280
	s_waitcnt lgkmcnt(0)
	s_barrier
	ds_read_b128 v[98:101], v102 offset:32896
	v_accvgpr_read_b32 v38, a76
	v_accvgpr_read_b32 v35, a78
	;; [unrolled: 1-line block ×15, first 2 shown]
	; sched_group_barrier mask(0x00000200) size(1) SyncID(0)
	; sched_group_barrier mask(0x00000008) size(1) SyncID(0)
	;; [unrolled: 1-line block ×31, first 2 shown]
	; sched_barrier mask(0x00000000)
	s_waitcnt lgkmcnt(0)
	v_mfma_f32_16x16x16f16 a[0:3], v[98:99], v[16:17], 0
	v_accvgpr_read_b32 v16, a216
	v_lshlrev_b32_e32 v16, 4, v16
	v_accvgpr_read_b32 v17, a253
	v_add3_u32 v16, v17, v16, v102
	ds_read_b128 v[102:105], v16 offset:32896
	; sched_group_barrier mask(0x00000008) size(1) SyncID(0)
	; sched_group_barrier mask(0x00000100) size(1) SyncID(0)
	v_mfma_f32_16x16x16f16 a[0:3], v[100:101], v[18:19], a[0:3]
	; sched_group_barrier mask(0x00000008) size(1) SyncID(0)
	; sched_group_barrier mask(0x00000100) size(1) SyncID(0)
	v_mfma_f32_16x16x16f16 a[4:7], v[98:99], v[20:21], 0
	;; [unrolled: 3-line block ×7, first 2 shown]
	; sched_group_barrier mask(0x00000008) size(1) SyncID(0)
	; sched_group_barrier mask(0x00000100) size(1) SyncID(0)
	s_waitcnt lgkmcnt(0)
	v_mfma_f32_16x16x16f16 a[0:3], v[102:103], v[0:1], a[0:3]
	; sched_group_barrier mask(0x00000008) size(1) SyncID(0)
	; sched_group_barrier mask(0x00000100) size(1) SyncID(0)
	v_mfma_f32_16x16x16f16 a[0:3], v[104:105], v[2:3], a[0:3]
	; sched_group_barrier mask(0x00000008) size(1) SyncID(0)
	; sched_group_barrier mask(0x00000100) size(1) SyncID(0)
	;; [unrolled: 3-line block ×3, first 2 shown]
	s_nop 7
	s_nop 1
	v_accvgpr_read_b32 v0, a0
	v_accvgpr_read_b32 v1, a1
	v_mfma_f32_16x16x16f16 a[4:7], v[104:105], v[6:7], a[4:7]
	v_accvgpr_read_b32 v2, a2
	v_accvgpr_read_b32 v3, a3
	; sched_group_barrier mask(0x00000008) size(1) SyncID(0)
	; sched_group_barrier mask(0x00000100) size(1) SyncID(0)
	v_mfma_f32_16x16x16f16 a[8:11], v[102:103], v[12:13], a[8:11]
	; sched_group_barrier mask(0x00000008) size(1) SyncID(0)
	; sched_group_barrier mask(0x00000100) size(1) SyncID(0)
	s_nop 7
	v_accvgpr_read_b32 v4, a4
	v_accvgpr_read_b32 v5, a5
	v_mfma_f32_16x16x16f16 a[8:11], v[104:105], v[14:15], a[8:11]
	v_accvgpr_read_b32 v6, a6
	v_accvgpr_read_b32 v7, a7
	; sched_group_barrier mask(0x00000008) size(1) SyncID(0)
	; sched_group_barrier mask(0x00000100) size(1) SyncID(0)
	v_mfma_f32_16x16x16f16 a[0:3], v[102:103], v[8:9], a[12:15]
	; sched_group_barrier mask(0x00000008) size(1) SyncID(0)
	; sched_group_barrier mask(0x00000100) size(1) SyncID(0)
	s_nop 7
	v_accvgpr_read_b32 v8, a8
	v_accvgpr_read_b32 v9, a9
	v_mfma_f32_16x16x16f16 a[0:3], v[104:105], v[10:11], a[0:3]
	v_accvgpr_read_b32 v12, a10
	v_accvgpr_read_b32 v13, a11
	; sched_group_barrier mask(0x00000008) size(1) SyncID(0)
	; sched_group_barrier mask(0x00000100) size(1) SyncID(0)
	s_nop 7
	s_nop 0
	v_accvgpr_read_b32 v10, a0
	v_accvgpr_read_b32 v11, a1
	;; [unrolled: 1-line block ×4, first 2 shown]
	; sched_barrier mask(0x00000000)
	v_mul_f32_e32 v20, s95, v57
	v_add_u32_e32 v57, s63, v97
	v_mul_f32_e32 v24, s95, v58
	v_mul_f32_e32 v28, s95, v59
	v_mad_u64_u32 v[58:59], s[2:3], v57, s41, v[32:33]
	v_mul_f32_e32 v98, s95, v0
	s_mov_b32 s83, s75
	v_lshlrev_b32_e32 v32, 2, v58
	buffer_atomic_add_f32 v98, v32, s[80:83], 0 offen
	v_add_u32_e32 v32, s41, v58
	v_mul_f32_e32 v99, s95, v1
	v_lshlrev_b32_e32 v57, 2, v32
	v_add_u32_e32 v32, s41, v32
	v_mul_f32_e32 v100, s95, v2
	buffer_atomic_add_f32 v99, v57, s[80:83], 0 offen
	v_lshlrev_b32_e32 v57, 2, v32
	v_add_u32_e32 v32, s41, v32
	v_mul_f32_e32 v101, s95, v3
	buffer_atomic_add_f32 v100, v57, s[80:83], 0 offen
	;; [unrolled: 4-line block ×13, first 2 shown]
	v_lshlrev_b32_e32 v57, 2, v32
	v_mul_f32_e32 v199, s95, v15
	buffer_atomic_add_f32 v198, v57, s[80:83], 0 offen
	v_add_lshl_u32 v32, v32, s41, 2
	buffer_atomic_add_f32 v199, v32, s[80:83], 0 offen
	v_mul_f32_e32 v0, s95, v41
	v_mul_f32_e32 v1, s95, v113
	;; [unrolled: 1-line block ×125, first 2 shown]
	v_accvgpr_read_b32 v172, a254
	v_accvgpr_read_b32 v152, a215
	s_branch .LBB1_3
.LBB1_25:
	s_endpgm
	.section	.rodata,"a",@progbits
	.p2align	6, 0x0
	.amdhsa_kernel _ZN7ck_tile6kentryINS_6gfx9_tELi1ENS_19FmhaBwdDQDKDVKernelINS_26BlockFmhaBwdDQDKDVPipelineINS_27BlockFmhaBwdPipelineProblemIDF16_DF16_DF16_DF16_fffDF16_hDF16_DF16_DF16_DF16_DF16_DF16_NS_16TileFmhaBwdShapeINS_8sequenceIJLi16ELi64ELi256ELi16ELi256ELi16ELi32ELi256ELi256EEEENS6_IJLi1ELi4ELi1EEEENS6_IJLi16ELi16ELi32EEEENS6_IJLi4ELi1ELi1EEEENS6_IJLi16ELi16ELi16EEEES8_S9_SA_SB_S8_S9_Li0EEELb0ELb1ENS_30SimplifiedGenericAttentionMaskILb1EEENS_15BlockDropoutBwdILb1ELb0ELb0EEELb0ENS_17TileFmhaBwdTraitsILi0ELi0ELNS_22BlockAttentionBiasEnumE2ELb0ELi1EEEEEvEENS_17Default2DEpilogueINS_24Default2DEpilogueProblemIfDF16_Lb0ELb0ELb1EEEvEESP_SP_EEJNSQ_21FmhaBwdBatchModeKargsEEEENSt9enable_ifIXnt26kattr_no_packed_fp32_ops_vIT_EEvE4typeEDpT2_
		.amdhsa_group_segment_fixed_size 65536
		.amdhsa_private_segment_fixed_size 48
		.amdhsa_kernarg_size 560
		.amdhsa_user_sgpr_count 6
		.amdhsa_user_sgpr_private_segment_buffer 1
		.amdhsa_user_sgpr_dispatch_ptr 0
		.amdhsa_user_sgpr_queue_ptr 0
		.amdhsa_user_sgpr_kernarg_segment_ptr 1
		.amdhsa_user_sgpr_dispatch_id 0
		.amdhsa_user_sgpr_flat_scratch_init 0
		.amdhsa_user_sgpr_kernarg_preload_length 0
		.amdhsa_user_sgpr_kernarg_preload_offset 0
		.amdhsa_user_sgpr_private_segment_size 0
		.amdhsa_uses_dynamic_stack 0
		.amdhsa_system_sgpr_private_segment_wavefront_offset 1
		.amdhsa_system_sgpr_workgroup_id_x 1
		.amdhsa_system_sgpr_workgroup_id_y 0
		.amdhsa_system_sgpr_workgroup_id_z 0
		.amdhsa_system_sgpr_workgroup_info 0
		.amdhsa_system_vgpr_workitem_id 0
		.amdhsa_next_free_vgpr 512
		.amdhsa_next_free_sgpr 100
		.amdhsa_accum_offset 256
		.amdhsa_reserve_vcc 1
		.amdhsa_reserve_flat_scratch 0
		.amdhsa_float_round_mode_32 0
		.amdhsa_float_round_mode_16_64 0
		.amdhsa_float_denorm_mode_32 0
		.amdhsa_float_denorm_mode_16_64 3
		.amdhsa_dx10_clamp 1
		.amdhsa_ieee_mode 1
		.amdhsa_fp16_overflow 0
		.amdhsa_tg_split 0
		.amdhsa_exception_fp_ieee_invalid_op 0
		.amdhsa_exception_fp_denorm_src 0
		.amdhsa_exception_fp_ieee_div_zero 0
		.amdhsa_exception_fp_ieee_overflow 0
		.amdhsa_exception_fp_ieee_underflow 0
		.amdhsa_exception_fp_ieee_inexact 0
		.amdhsa_exception_int_div_zero 0
	.end_amdhsa_kernel
	.section	.text._ZN7ck_tile6kentryINS_6gfx9_tELi1ENS_19FmhaBwdDQDKDVKernelINS_26BlockFmhaBwdDQDKDVPipelineINS_27BlockFmhaBwdPipelineProblemIDF16_DF16_DF16_DF16_fffDF16_hDF16_DF16_DF16_DF16_DF16_DF16_NS_16TileFmhaBwdShapeINS_8sequenceIJLi16ELi64ELi256ELi16ELi256ELi16ELi32ELi256ELi256EEEENS6_IJLi1ELi4ELi1EEEENS6_IJLi16ELi16ELi32EEEENS6_IJLi4ELi1ELi1EEEENS6_IJLi16ELi16ELi16EEEES8_S9_SA_SB_S8_S9_Li0EEELb0ELb1ENS_30SimplifiedGenericAttentionMaskILb1EEENS_15BlockDropoutBwdILb1ELb0ELb0EEELb0ENS_17TileFmhaBwdTraitsILi0ELi0ELNS_22BlockAttentionBiasEnumE2ELb0ELi1EEEEEvEENS_17Default2DEpilogueINS_24Default2DEpilogueProblemIfDF16_Lb0ELb0ELb1EEEvEESP_SP_EEJNSQ_21FmhaBwdBatchModeKargsEEEENSt9enable_ifIXnt26kattr_no_packed_fp32_ops_vIT_EEvE4typeEDpT2_,"axG",@progbits,_ZN7ck_tile6kentryINS_6gfx9_tELi1ENS_19FmhaBwdDQDKDVKernelINS_26BlockFmhaBwdDQDKDVPipelineINS_27BlockFmhaBwdPipelineProblemIDF16_DF16_DF16_DF16_fffDF16_hDF16_DF16_DF16_DF16_DF16_DF16_NS_16TileFmhaBwdShapeINS_8sequenceIJLi16ELi64ELi256ELi16ELi256ELi16ELi32ELi256ELi256EEEENS6_IJLi1ELi4ELi1EEEENS6_IJLi16ELi16ELi32EEEENS6_IJLi4ELi1ELi1EEEENS6_IJLi16ELi16ELi16EEEES8_S9_SA_SB_S8_S9_Li0EEELb0ELb1ENS_30SimplifiedGenericAttentionMaskILb1EEENS_15BlockDropoutBwdILb1ELb0ELb0EEELb0ENS_17TileFmhaBwdTraitsILi0ELi0ELNS_22BlockAttentionBiasEnumE2ELb0ELi1EEEEEvEENS_17Default2DEpilogueINS_24Default2DEpilogueProblemIfDF16_Lb0ELb0ELb1EEEvEESP_SP_EEJNSQ_21FmhaBwdBatchModeKargsEEEENSt9enable_ifIXnt26kattr_no_packed_fp32_ops_vIT_EEvE4typeEDpT2_,comdat
.Lfunc_end1:
	.size	_ZN7ck_tile6kentryINS_6gfx9_tELi1ENS_19FmhaBwdDQDKDVKernelINS_26BlockFmhaBwdDQDKDVPipelineINS_27BlockFmhaBwdPipelineProblemIDF16_DF16_DF16_DF16_fffDF16_hDF16_DF16_DF16_DF16_DF16_DF16_NS_16TileFmhaBwdShapeINS_8sequenceIJLi16ELi64ELi256ELi16ELi256ELi16ELi32ELi256ELi256EEEENS6_IJLi1ELi4ELi1EEEENS6_IJLi16ELi16ELi32EEEENS6_IJLi4ELi1ELi1EEEENS6_IJLi16ELi16ELi16EEEES8_S9_SA_SB_S8_S9_Li0EEELb0ELb1ENS_30SimplifiedGenericAttentionMaskILb1EEENS_15BlockDropoutBwdILb1ELb0ELb0EEELb0ENS_17TileFmhaBwdTraitsILi0ELi0ELNS_22BlockAttentionBiasEnumE2ELb0ELi1EEEEEvEENS_17Default2DEpilogueINS_24Default2DEpilogueProblemIfDF16_Lb0ELb0ELb1EEEvEESP_SP_EEJNSQ_21FmhaBwdBatchModeKargsEEEENSt9enable_ifIXnt26kattr_no_packed_fp32_ops_vIT_EEvE4typeEDpT2_, .Lfunc_end1-_ZN7ck_tile6kentryINS_6gfx9_tELi1ENS_19FmhaBwdDQDKDVKernelINS_26BlockFmhaBwdDQDKDVPipelineINS_27BlockFmhaBwdPipelineProblemIDF16_DF16_DF16_DF16_fffDF16_hDF16_DF16_DF16_DF16_DF16_DF16_NS_16TileFmhaBwdShapeINS_8sequenceIJLi16ELi64ELi256ELi16ELi256ELi16ELi32ELi256ELi256EEEENS6_IJLi1ELi4ELi1EEEENS6_IJLi16ELi16ELi32EEEENS6_IJLi4ELi1ELi1EEEENS6_IJLi16ELi16ELi16EEEES8_S9_SA_SB_S8_S9_Li0EEELb0ELb1ENS_30SimplifiedGenericAttentionMaskILb1EEENS_15BlockDropoutBwdILb1ELb0ELb0EEELb0ENS_17TileFmhaBwdTraitsILi0ELi0ELNS_22BlockAttentionBiasEnumE2ELb0ELi1EEEEEvEENS_17Default2DEpilogueINS_24Default2DEpilogueProblemIfDF16_Lb0ELb0ELb1EEEvEESP_SP_EEJNSQ_21FmhaBwdBatchModeKargsEEEENSt9enable_ifIXnt26kattr_no_packed_fp32_ops_vIT_EEvE4typeEDpT2_
                                        ; -- End function
	.section	.AMDGPU.csdata,"",@progbits
; Kernel info:
; codeLenInByte = 24540
; NumSgprs: 104
; NumVgprs: 256
; NumAgprs: 256
; TotalNumVgprs: 512
; ScratchSize: 48
; MemoryBound: 0
; FloatMode: 192
; IeeeMode: 1
; LDSByteSize: 65536 bytes/workgroup (compile time only)
; SGPRBlocks: 12
; VGPRBlocks: 63
; NumSGPRsForWavesPerEU: 104
; NumVGPRsForWavesPerEU: 512
; AccumOffset: 256
; Occupancy: 1
; WaveLimiterHint : 0
; COMPUTE_PGM_RSRC2:SCRATCH_EN: 1
; COMPUTE_PGM_RSRC2:USER_SGPR: 6
; COMPUTE_PGM_RSRC2:TRAP_HANDLER: 0
; COMPUTE_PGM_RSRC2:TGID_X_EN: 1
; COMPUTE_PGM_RSRC2:TGID_Y_EN: 0
; COMPUTE_PGM_RSRC2:TGID_Z_EN: 0
; COMPUTE_PGM_RSRC2:TIDIG_COMP_CNT: 0
; COMPUTE_PGM_RSRC3_GFX90A:ACCUM_OFFSET: 63
; COMPUTE_PGM_RSRC3_GFX90A:TG_SPLIT: 0
	.text
	.p2alignl 6, 3212836864
	.fill 256, 4, 3212836864
	.type	__hip_cuid_98d0e2482f6b26b7,@object ; @__hip_cuid_98d0e2482f6b26b7
	.section	.bss,"aw",@nobits
	.globl	__hip_cuid_98d0e2482f6b26b7
__hip_cuid_98d0e2482f6b26b7:
	.byte	0                               ; 0x0
	.size	__hip_cuid_98d0e2482f6b26b7, 1

	.ident	"AMD clang version 19.0.0git (https://github.com/RadeonOpenCompute/llvm-project roc-6.4.0 25133 c7fe45cf4b819c5991fe208aaa96edf142730f1d)"
	.section	".note.GNU-stack","",@progbits
	.addrsig
	.addrsig_sym __hip_cuid_98d0e2482f6b26b7
	.amdgpu_metadata
---
amdhsa.kernels:
  - .agpr_count:     0
    .args:           []
    .group_segment_fixed_size: 0
    .kernarg_segment_align: 4
    .kernarg_segment_size: 0
    .language:       OpenCL C
    .language_version:
      - 2
      - 0
    .max_flat_workgroup_size: 1024
    .name:           _ZN7ck_tileL11flush_cacheEv
    .private_segment_fixed_size: 0
    .sgpr_count:     4
    .sgpr_spill_count: 0
    .symbol:         _ZN7ck_tileL11flush_cacheEv.kd
    .uses_dynamic_stack: false
    .vgpr_count:     0
    .vgpr_spill_count: 0
    .wavefront_size: 64
  - .agpr_count:     256
    .args:
      - .offset:         0
        .size:           304
        .value_kind:     by_value
      - .offset:         304
        .size:           4
        .value_kind:     hidden_block_count_x
      - .offset:         308
        .size:           4
        .value_kind:     hidden_block_count_y
      - .offset:         312
        .size:           4
        .value_kind:     hidden_block_count_z
      - .offset:         316
        .size:           2
        .value_kind:     hidden_group_size_x
      - .offset:         318
        .size:           2
        .value_kind:     hidden_group_size_y
      - .offset:         320
        .size:           2
        .value_kind:     hidden_group_size_z
      - .offset:         322
        .size:           2
        .value_kind:     hidden_remainder_x
      - .offset:         324
        .size:           2
        .value_kind:     hidden_remainder_y
      - .offset:         326
        .size:           2
        .value_kind:     hidden_remainder_z
      - .offset:         344
        .size:           8
        .value_kind:     hidden_global_offset_x
      - .offset:         352
        .size:           8
        .value_kind:     hidden_global_offset_y
      - .offset:         360
        .size:           8
        .value_kind:     hidden_global_offset_z
      - .offset:         368
        .size:           2
        .value_kind:     hidden_grid_dims
    .group_segment_fixed_size: 65536
    .kernarg_segment_align: 8
    .kernarg_segment_size: 560
    .language:       OpenCL C
    .language_version:
      - 2
      - 0
    .max_flat_workgroup_size: 256
    .name:           _ZN7ck_tile6kentryINS_6gfx9_tELi1ENS_19FmhaBwdDQDKDVKernelINS_26BlockFmhaBwdDQDKDVPipelineINS_27BlockFmhaBwdPipelineProblemIDF16_DF16_DF16_DF16_fffDF16_hDF16_DF16_DF16_DF16_DF16_DF16_NS_16TileFmhaBwdShapeINS_8sequenceIJLi16ELi64ELi256ELi16ELi256ELi16ELi32ELi256ELi256EEEENS6_IJLi1ELi4ELi1EEEENS6_IJLi16ELi16ELi32EEEENS6_IJLi4ELi1ELi1EEEENS6_IJLi16ELi16ELi16EEEES8_S9_SA_SB_S8_S9_Li0EEELb0ELb1ENS_30SimplifiedGenericAttentionMaskILb1EEENS_15BlockDropoutBwdILb1ELb0ELb0EEELb0ENS_17TileFmhaBwdTraitsILi0ELi0ELNS_22BlockAttentionBiasEnumE2ELb0ELi1EEEEEvEENS_17Default2DEpilogueINS_24Default2DEpilogueProblemIfDF16_Lb0ELb0ELb1EEEvEESP_SP_EEJNSQ_21FmhaBwdBatchModeKargsEEEENSt9enable_ifIXnt26kattr_no_packed_fp32_ops_vIT_EEvE4typeEDpT2_
    .private_segment_fixed_size: 48
    .sgpr_count:     104
    .sgpr_spill_count: 86
    .symbol:         _ZN7ck_tile6kentryINS_6gfx9_tELi1ENS_19FmhaBwdDQDKDVKernelINS_26BlockFmhaBwdDQDKDVPipelineINS_27BlockFmhaBwdPipelineProblemIDF16_DF16_DF16_DF16_fffDF16_hDF16_DF16_DF16_DF16_DF16_DF16_NS_16TileFmhaBwdShapeINS_8sequenceIJLi16ELi64ELi256ELi16ELi256ELi16ELi32ELi256ELi256EEEENS6_IJLi1ELi4ELi1EEEENS6_IJLi16ELi16ELi32EEEENS6_IJLi4ELi1ELi1EEEENS6_IJLi16ELi16ELi16EEEES8_S9_SA_SB_S8_S9_Li0EEELb0ELb1ENS_30SimplifiedGenericAttentionMaskILb1EEENS_15BlockDropoutBwdILb1ELb0ELb0EEELb0ENS_17TileFmhaBwdTraitsILi0ELi0ELNS_22BlockAttentionBiasEnumE2ELb0ELi1EEEEEvEENS_17Default2DEpilogueINS_24Default2DEpilogueProblemIfDF16_Lb0ELb0ELb1EEEvEESP_SP_EEJNSQ_21FmhaBwdBatchModeKargsEEEENSt9enable_ifIXnt26kattr_no_packed_fp32_ops_vIT_EEvE4typeEDpT2_.kd
    .uses_dynamic_stack: false
    .vgpr_count:     512
    .vgpr_spill_count: 11
    .wavefront_size: 64
amdhsa.target:   amdgcn-amd-amdhsa--gfx90a
amdhsa.version:
  - 1
  - 2
...

	.end_amdgpu_metadata
